;; amdgpu-corpus repo=vllm-project/vllm kind=compiled arch=gfx90a opt=O3
	.text
	.amdgcn_target "amdgcn-amd-amdhsa--gfx90a"
	.amdhsa_code_object_version 6
	.section	.text._ZN4vllm24act_and_mul_quant_kernelIfTnPFT_RKS1_EXadL_ZNS_11silu_kernelIfEES1_S3_EEN3c1013Float8_e4m3fnEEEvPT1_PS2_PKfi,"axG",@progbits,_ZN4vllm24act_and_mul_quant_kernelIfTnPFT_RKS1_EXadL_ZNS_11silu_kernelIfEES1_S3_EEN3c1013Float8_e4m3fnEEEvPT1_PS2_PKfi,comdat
	.protected	_ZN4vllm24act_and_mul_quant_kernelIfTnPFT_RKS1_EXadL_ZNS_11silu_kernelIfEES1_S3_EEN3c1013Float8_e4m3fnEEEvPT1_PS2_PKfi ; -- Begin function _ZN4vllm24act_and_mul_quant_kernelIfTnPFT_RKS1_EXadL_ZNS_11silu_kernelIfEES1_S3_EEN3c1013Float8_e4m3fnEEEvPT1_PS2_PKfi
	.globl	_ZN4vllm24act_and_mul_quant_kernelIfTnPFT_RKS1_EXadL_ZNS_11silu_kernelIfEES1_S3_EEN3c1013Float8_e4m3fnEEEvPT1_PS2_PKfi
	.p2align	8
	.type	_ZN4vllm24act_and_mul_quant_kernelIfTnPFT_RKS1_EXadL_ZNS_11silu_kernelIfEES1_S3_EEN3c1013Float8_e4m3fnEEEvPT1_PS2_PKfi,@function
_ZN4vllm24act_and_mul_quant_kernelIfTnPFT_RKS1_EXadL_ZNS_11silu_kernelIfEES1_S3_EEN3c1013Float8_e4m3fnEEEvPT1_PS2_PKfi: ; @_ZN4vllm24act_and_mul_quant_kernelIfTnPFT_RKS1_EXadL_ZNS_11silu_kernelIfEES1_S3_EEN3c1013Float8_e4m3fnEEEvPT1_PS2_PKfi
; %bb.0:
	s_load_dword s1, s[4:5], 0x24
	s_load_dword s22, s[4:5], 0x18
	s_add_u32 s2, s4, 32
	s_mov_b32 s0, s7
	s_addc_u32 s3, s5, 0
	s_waitcnt lgkmcnt(0)
	s_abs_i32 s7, s1
	v_cvt_f32_u32_e32 v1, s7
	s_sub_i32 s9, 0, s7
	s_add_i32 s8, s22, s1
	s_add_i32 s8, s8, -1
	v_rcp_iflag_f32_e32 v1, v1
	s_xor_b32 s1, s8, s1
	s_abs_i32 s8, s8
	s_ashr_i32 s1, s1, 31
	v_mul_f32_e32 v1, 0x4f7ffffe, v1
	v_cvt_u32_f32_e32 v1, v1
	s_load_dwordx4 s[28:31], s[4:5], 0x0
	v_readfirstlane_b32 s10, v1
	s_mul_i32 s9, s9, s10
	s_mul_hi_u32 s9, s10, s9
	s_add_i32 s10, s10, s9
	s_mul_hi_u32 s9, s8, s10
	s_mul_i32 s10, s9, s7
	s_sub_i32 s8, s8, s10
	s_add_i32 s10, s9, 1
	s_sub_i32 s11, s8, s7
	s_cmp_ge_u32 s8, s7
	s_cselect_b32 s9, s10, s9
	s_cselect_b32 s8, s11, s8
	s_add_i32 s10, s9, 1
	s_cmp_ge_u32 s8, s7
	s_cselect_b32 s7, s10, s9
	s_xor_b32 s7, s7, s1
	s_sub_i32 s1, s7, s1
	s_and_b32 s7, s1, 3
	s_cmp_eq_u32 s7, 0
	s_mov_b32 s7, 0
	s_cbranch_scc1 .LBB0_2
; %bb.1:
	s_ashr_i32 s8, s1, 31
	s_lshr_b32 s8, s8, 30
	s_add_i32 s1, s1, s8
	s_and_b32 s1, s1, -4
	s_add_i32 s1, s1, 4
.LBB0_2:
	s_mul_i32 s8, s1, s0
	s_add_i32 s0, s8, s1
	s_min_i32 s34, s0, s22
	s_abs_i32 s9, s34
	v_cvt_f32_u32_e32 v1, s9
	s_load_dwordx2 s[0:1], s[4:5], 0x10
	s_ashr_i32 s23, s22, 31
	s_mul_hi_u32 s4, s22, s6
	v_rcp_iflag_f32_e32 v1, v1
	s_mul_i32 s5, s23, s6
	s_add_i32 s37, s4, s5
	s_sub_i32 s4, 0, s9
	v_mul_f32_e32 v1, 0x4f7ffffe, v1
	v_cvt_u32_f32_e32 v1, v1
	s_waitcnt lgkmcnt(0)
	s_load_dword s5, s[0:1], 0x0
	s_mul_i32 s36, s22, s6
	v_readfirstlane_b32 s0, v1
	s_mul_i32 s4, s4, s0
	s_mul_hi_u32 s1, s0, s4
	s_add_i32 s0, s0, s1
	s_lshr_b32 s0, s0, 30
	s_mul_i32 s0, s0, s9
	s_sub_i32 s0, 4, s0
	s_sub_i32 s1, s0, s9
	s_cmp_ge_u32 s0, s9
	s_cselect_b32 s0, s1, s0
	s_sub_i32 s1, s0, s9
	s_cmp_ge_u32 s0, s9
	s_cselect_b32 s24, s1, s0
	s_cmp_eq_u32 s24, 0
	s_cselect_b64 s[0:1], -1, 0
	v_cndmask_b32_e64 v11, 0, 1, s[0:1]
	s_waitcnt lgkmcnt(0)
	v_div_scale_f32 v1, s[0:1], s5, s5, 1.0
	v_rcp_f32_e32 v2, v1
	s_ashr_i32 s4, s8, 31
	s_lshr_b32 s0, s4, 30
	s_add_i32 s8, s8, s0
	v_fma_f32 v3, -v1, v2, 1.0
	v_fmac_f32_e32 v2, v3, v2
	v_div_scale_f32 v3, vcc, 1.0, s5, 1.0
	v_mul_f32_e32 v4, v3, v2
	v_fma_f32 v5, -v1, v4, v3
	v_fmac_f32_e32 v4, v5, v2
	s_ashr_i32 s0, s8, 2
	v_fma_f32 v1, -v1, v4, v3
	v_div_fmas_f32 v1, v1, v2, v4
	v_add_u32_e32 v13, s0, v0
	v_div_fixup_f32 v10, v1, s5, 1.0
	v_cmp_lt_i32_e32 vcc, v13, v11
	s_and_saveexec_b64 s[4:5], vcc
	s_cbranch_execz .LBB0_69
; %bb.3:
	s_load_dword s1, s[2:3], 0xc
	s_ashr_i32 s10, s0, 31
	v_add_co_u32_e32 v2, vcc, s0, v0
	v_mov_b32_e32 v1, s10
	s_waitcnt lgkmcnt(0)
	s_and_b32 s26, s1, 0xffff
	s_lshl_b64 s[0:1], s[6:7], 3
	s_or_b32 s0, s0, 4
	s_mul_i32 s10, s0, s23
	s_mul_hi_u32 s11, s0, s22
	v_addc_co_u32_e32 v3, vcc, 0, v1, vcc
	s_add_i32 s10, s11, s10
	s_mul_i32 s1, s1, s22
	s_lshl_b64 s[8:9], s[36:37], 3
	v_lshlrev_b64 v[4:5], 4, v[2:3]
	s_lshl_b32 s27, s26, 4
	s_add_i32 s1, s10, s1
	v_mov_b32_e32 v1, s31
	v_add_co_u32_e32 v12, vcc, s30, v4
	s_mul_i32 s33, s0, s22
	s_add_u32 s0, s28, s36
	v_addc_co_u32_e32 v1, vcc, v1, v5, vcc
	v_lshlrev_b64 v[2:3], 3, v[2:3]
	s_addc_u32 s10, s29, s37
	s_mov_b32 s25, 0
	v_mov_b32_e32 v4, s10
	v_add_co_u32_e32 v14, vcc, s0, v2
	v_addc_co_u32_e32 v15, vcc, v4, v3, vcc
	s_lshl_b32 s35, s26, 3
	s_mov_b32 s38, s25
	s_mov_b64 s[10:11], 0
	v_mov_b32_e32 v22, s9
	v_mov_b32_e32 v23, s1
	s_mov_b32 s9, 0xbfb8aa3b
	s_mov_b32 s39, 0x42ce8ed0
	;; [unrolled: 1-line block ×3, first 2 shown]
	v_mov_b32_e32 v24, 0x7f800000
	v_mov_b32_e32 v17, 0
	s_movk_i32 s41, 0x80
	s_mov_b64 s[12:13], 0x7f800000
	s_mov_b64 s[14:15], 0x43e00001
	s_movk_i32 s42, 0x79
	s_movk_i32 s43, 0x7f
	s_mov_b32 s44, 0x4020c0c
	s_mov_b32 s45, 0xff00
	s_movk_i32 s46, 0xff
	v_mov_b32_e32 v25, 0x78
	v_mov_b32_e32 v26, 0xffffff89
	s_branch .LBB0_5
.LBB0_4:                                ;   in Loop: Header=BB0_5 Depth=1
	s_or_b64 exec, exec, s[0:1]
	v_lshlrev_b32_e32 v3, 16, v6
	v_perm_b32 v3, v8, v3, s44
	v_lshlrev_b32_e32 v2, 8, v2
	v_and_or_b32 v2, v2, s45, v3
	v_and_or_b32 v16, v18, s46, v2
	v_mov_b32_e32 v2, s25
	v_add_co_u32_e32 v12, vcc, s27, v12
	v_add_u32_e32 v13, s26, v13
	v_addc_co_u32_e32 v1, vcc, v1, v2, vcc
	v_cmp_ge_i32_e32 vcc, v13, v11
	global_store_dwordx2 v[14:15], v[16:17], off
	v_mov_b32_e32 v2, s38
	s_or_b64 s[10:11], vcc, s[10:11]
	v_add_co_u32_e32 v14, vcc, s35, v14
	v_addc_co_u32_e32 v15, vcc, v15, v2, vcc
	s_andn2_b64 exec, exec, s[10:11]
	s_cbranch_execz .LBB0_69
.LBB0_5:                                ; =>This Inner Loop Header: Depth=1
	v_add_co_u32_e32 v2, vcc, s8, v12
	v_addc_co_u32_e32 v3, vcc, v1, v22, vcc
	global_load_dwordx4 v[2:5], v[2:3], off
	v_add_co_u32_e32 v6, vcc, s33, v12
	v_addc_co_u32_e32 v7, vcc, v1, v23, vcc
	global_load_dwordx4 v[6:9], v[6:7], off
	v_mov_b32_e32 v21, v17
	s_waitcnt vmcnt(1)
	v_mul_f32_e32 v16, 0xbfb8aa3b, v2
	v_fma_f32 v18, v2, s9, -v16
	v_rndne_f32_e32 v19, v16
	v_fmac_f32_e32 v18, 0xb2a5705f, v2
	v_sub_f32_e32 v16, v16, v19
	v_add_f32_e32 v16, v16, v18
	v_cvt_i32_f32_e32 v19, v19
	v_exp_f32_e32 v16, v16
	v_cmp_nlt_f32_e32 vcc, s39, v2
	v_ldexp_f32 v16, v16, v19
	v_cndmask_b32_e32 v16, 0, v16, vcc
	v_cmp_ngt_f32_e32 vcc, s40, v2
	v_cndmask_b32_e32 v16, v24, v16, vcc
	v_add_f32_e32 v16, 1.0, v16
	v_div_scale_f32 v18, s[0:1], v16, v16, v2
	v_rcp_f32_e32 v19, v18
	v_div_scale_f32 v20, vcc, v2, v16, v2
	v_fma_f32 v27, -v18, v19, 1.0
	v_fmac_f32_e32 v19, v27, v19
	v_mul_f32_e32 v27, v20, v19
	v_fma_f32 v28, -v18, v27, v20
	v_fmac_f32_e32 v27, v28, v19
	v_fma_f32 v18, -v18, v27, v20
	v_div_fmas_f32 v18, v18, v19, v27
	v_div_fixup_f32 v2, v18, v16, v2
	s_waitcnt vmcnt(0)
	v_mul_f32_e32 v2, v6, v2
	v_mul_f32_e32 v2, v10, v2
	v_min_f32_e32 v2, 0x43e00000, v2
	v_max_f32_e32 v6, 0xc3e00000, v2
	v_and_b32_sdwa v2, v6, s41 dst_sel:DWORD dst_unused:UNUSED_PAD src0_sel:BYTE_3 src1_sel:DWORD
	v_and_b32_e32 v20, 0x7f800000, v6
	v_and_b32_e32 v16, 0x7fffff, v6
	v_or_b32_e32 v18, 0x7e, v2
	v_cmp_ne_u64_e32 vcc, s[12:13], v[20:21]
	s_and_saveexec_b64 s[0:1], vcc
	s_xor_b64 s[16:17], exec, s[0:1]
	s_cbranch_execz .LBB0_19
; %bb.6:                                ;   in Loop: Header=BB0_5 Depth=1
	v_and_b32_e32 v20, 0x7fffffff, v6
	v_mov_b32_e32 v21, v17
	v_cmp_gt_u64_e32 vcc, s[14:15], v[20:21]
	s_and_saveexec_b64 s[0:1], vcc
	s_xor_b64 s[18:19], exec, s[0:1]
	s_cbranch_execz .LBB0_18
; %bb.7:                                ;   in Loop: Header=BB0_5 Depth=1
	v_cmp_ne_u32_e32 vcc, 0, v6
	v_pk_mov_b32 v[18:19], 0, 0
	s_and_saveexec_b64 s[20:21], vcc
	s_cbranch_execz .LBB0_17
; %bb.8:                                ;   in Loop: Header=BB0_5 Depth=1
	v_bfe_u32 v6, v6, 23, 8
	v_sub_u32_e64 v18, s42, v6 clamp
	v_cmp_eq_u32_e32 vcc, 0, v6
	v_add_u32_e32 v27, 0xffffff88, v6
	v_cndmask_b32_e32 v6, v18, v25, vcc
	v_or_b32_e32 v19, 0x800000, v16
	v_add_u32_e32 v18, 20, v6
	v_cndmask_b32_e32 v16, v19, v16, vcc
	v_lshlrev_b64 v[18:19], v18, -1
	v_not_b32_e32 v19, v19
	v_not_b32_e32 v18, v18
	v_add_u32_e32 v20, 19, v6
	v_and_b32_e32 v19, 0, v19
	v_and_b32_e32 v18, v16, v18
	v_lshlrev_b64 v[20:21], v20, 1
	v_cmp_eq_u64_e64 s[0:1], v[18:19], v[20:21]
	v_lshrrev_b64 v[18:19], v6, v[16:17]
	v_cndmask_b32_e32 v16, v27, v26, vcc
	v_lshrrev_b32_e32 v20, 23, v18
	v_add3_u32 v20, v16, v6, v20
	v_and_b32_e32 v16, 0x100000, v18
	v_cmp_eq_u64_e32 vcc, 0, v[16:17]
	s_and_b64 vcc, vcc, s[0:1]
	v_subbrev_co_u32_e32 v6, vcc, 0, v18, vcc
	v_and_b32_e32 v6, 0xfffff, v6
	v_add_co_u32_e32 v18, vcc, v6, v18
	v_add_u32_e32 v21, -1, v20
	v_addc_co_u32_e32 v19, vcc, 0, v19, vcc
	v_cmp_ne_u32_e32 vcc, 0, v21
                                        ; implicit-def: $vgpr6
	s_and_saveexec_b64 s[0:1], vcc
	s_xor_b64 s[0:1], exec, s[0:1]
; %bb.9:                                ;   in Loop: Header=BB0_5 Depth=1
	v_and_b32_e32 v16, 0x1000000, v18
	v_cmp_eq_u64_e32 vcc, 0, v[16:17]
	v_bfe_u32 v16, v18, 24, 1
	v_cndmask_b32_e32 v6, v20, v21, vcc
	v_lshrrev_b64 v[18:19], v16, v[18:19]
; %bb.10:                               ;   in Loop: Header=BB0_5 Depth=1
	s_andn2_saveexec_b64 s[0:1], s[0:1]
; %bb.11:                               ;   in Loop: Header=BB0_5 Depth=1
	v_bfe_u32 v6, v18, 23, 1
; %bb.12:                               ;   in Loop: Header=BB0_5 Depth=1
	s_or_b64 exec, exec, s[0:1]
	v_lshrrev_b64 v[18:19], 20, v[18:19]
	v_cmp_gt_i32_e32 vcc, 16, v6
	v_cndmask_b32_e32 v21, 0, v19, vcc
	v_cndmask_b32_e32 v20, 7, v18, vcc
	v_cmp_ne_u32_e32 vcc, 0, v6
	v_cmp_ne_u64_e64 s[0:1], 0, v[20:21]
	s_or_b64 s[0:1], vcc, s[0:1]
                                        ; implicit-def: $vgpr18_vgpr19
	s_and_saveexec_b64 s[48:49], s[0:1]
	s_xor_b64 s[0:1], exec, s[48:49]
; %bb.13:                               ;   in Loop: Header=BB0_5 Depth=1
	v_min_i32_e32 v6, 15, v6
	v_lshl_or_b32 v2, v6, 3, v2
	v_and_or_b32 v18, v20, 7, v2
                                        ; implicit-def: $vgpr2
; %bb.14:                               ;   in Loop: Header=BB0_5 Depth=1
	s_andn2_saveexec_b64 s[0:1], s[0:1]
; %bb.15:                               ;   in Loop: Header=BB0_5 Depth=1
	v_pk_mov_b32 v[18:19], v[2:3], v[2:3] op_sel:[0,1]
; %bb.16:                               ;   in Loop: Header=BB0_5 Depth=1
	s_or_b64 exec, exec, s[0:1]
.LBB0_17:                               ;   in Loop: Header=BB0_5 Depth=1
	s_or_b64 exec, exec, s[20:21]
.LBB0_18:                               ;   in Loop: Header=BB0_5 Depth=1
	s_andn2_saveexec_b64 s[0:1], s[18:19]
	s_or_b64 exec, exec, s[0:1]
                                        ; implicit-def: $vgpr6
.LBB0_19:                               ;   in Loop: Header=BB0_5 Depth=1
	s_andn2_saveexec_b64 s[0:1], s[16:17]
; %bb.20:                               ;   in Loop: Header=BB0_5 Depth=1
	v_or_b32_sdwa v2, v6, s43 dst_sel:DWORD dst_unused:UNUSED_PAD src0_sel:BYTE_3 src1_sel:DWORD
	v_cmp_eq_u64_e32 vcc, 0, v[16:17]
	v_cndmask_b32_e32 v18, v2, v18, vcc
; %bb.21:                               ;   in Loop: Header=BB0_5 Depth=1
	s_or_b64 exec, exec, s[0:1]
	v_mul_f32_e32 v2, 0xbfb8aa3b, v3
	v_rndne_f32_e32 v6, v2
	v_sub_f32_e32 v16, v2, v6
	v_fma_f32 v2, v3, s9, -v2
	v_fmac_f32_e32 v2, 0xb2a5705f, v3
	v_add_f32_e32 v2, v16, v2
	v_cvt_i32_f32_e32 v6, v6
	v_exp_f32_e32 v2, v2
	v_cmp_nlt_f32_e32 vcc, s39, v3
	v_ldexp_f32 v2, v2, v6
	v_cndmask_b32_e32 v2, 0, v2, vcc
	v_cmp_ngt_f32_e32 vcc, s40, v3
	v_cndmask_b32_e32 v2, v24, v2, vcc
	v_add_f32_e32 v2, 1.0, v2
	v_div_scale_f32 v6, s[0:1], v2, v2, v3
	v_rcp_f32_e32 v16, v6
	v_fma_f32 v19, -v6, v16, 1.0
	v_fmac_f32_e32 v16, v19, v16
	v_div_scale_f32 v19, vcc, v3, v2, v3
	v_mul_f32_e32 v20, v19, v16
	v_fma_f32 v21, -v6, v20, v19
	v_fmac_f32_e32 v20, v21, v16
	v_fma_f32 v6, -v6, v20, v19
	v_div_fmas_f32 v6, v6, v16, v20
	v_div_fixup_f32 v2, v6, v2, v3
	v_mul_f32_e32 v2, v7, v2
	v_mul_f32_e32 v2, v10, v2
	v_min_f32_e32 v2, 0x43e00000, v2
	v_max_f32_e32 v7, 0xc3e00000, v2
	v_and_b32_sdwa v6, v7, s41 dst_sel:DWORD dst_unused:UNUSED_PAD src0_sel:BYTE_3 src1_sel:DWORD
	v_and_b32_e32 v20, 0x7f800000, v7
	v_mov_b32_e32 v21, v17
	v_and_b32_e32 v16, 0x7fffff, v7
	v_or_b32_e32 v2, 0x7e, v6
	v_cmp_ne_u64_e32 vcc, s[12:13], v[20:21]
	s_and_saveexec_b64 s[0:1], vcc
	s_xor_b64 s[16:17], exec, s[0:1]
	s_cbranch_execz .LBB0_35
; %bb.22:                               ;   in Loop: Header=BB0_5 Depth=1
	v_and_b32_e32 v20, 0x7fffffff, v7
	v_mov_b32_e32 v21, v17
	v_cmp_gt_u64_e32 vcc, s[14:15], v[20:21]
	s_and_saveexec_b64 s[0:1], vcc
	s_xor_b64 s[18:19], exec, s[0:1]
	s_cbranch_execz .LBB0_34
; %bb.23:                               ;   in Loop: Header=BB0_5 Depth=1
	v_cmp_ne_u32_e32 vcc, 0, v7
	v_pk_mov_b32 v[2:3], 0, 0
	s_and_saveexec_b64 s[20:21], vcc
	s_cbranch_execz .LBB0_33
; %bb.24:                               ;   in Loop: Header=BB0_5 Depth=1
	v_bfe_u32 v2, v7, 23, 8
	v_sub_u32_e64 v3, s42, v2 clamp
	v_cmp_eq_u32_e32 vcc, 0, v2
	v_cndmask_b32_e32 v27, v3, v25, vcc
	v_add_u32_e32 v19, 0xffffff88, v2
	v_add_u32_e32 v2, 20, v27
	v_or_b32_e32 v7, 0x800000, v16
	v_lshlrev_b64 v[2:3], v2, -1
	v_cndmask_b32_e32 v16, v7, v16, vcc
	v_not_b32_e32 v3, v3
	v_not_b32_e32 v2, v2
	v_add_u32_e32 v7, 19, v27
	v_and_b32_e32 v3, 0, v3
	v_and_b32_e32 v2, v16, v2
	v_lshlrev_b64 v[20:21], v7, 1
	v_cmp_eq_u64_e64 s[0:1], v[2:3], v[20:21]
	v_lshrrev_b64 v[2:3], v27, v[16:17]
	v_cndmask_b32_e32 v7, v19, v26, vcc
	v_lshrrev_b32_e32 v16, 23, v2
	v_add3_u32 v19, v7, v27, v16
	v_and_b32_e32 v16, 0x100000, v2
	v_cmp_eq_u64_e32 vcc, 0, v[16:17]
	s_and_b64 vcc, vcc, s[0:1]
	v_subbrev_co_u32_e32 v7, vcc, 0, v2, vcc
	v_and_b32_e32 v7, 0xfffff, v7
	v_add_co_u32_e32 v2, vcc, v7, v2
	v_add_u32_e32 v20, -1, v19
	v_addc_co_u32_e32 v3, vcc, 0, v3, vcc
	v_cmp_ne_u32_e32 vcc, 0, v20
                                        ; implicit-def: $vgpr7
	s_and_saveexec_b64 s[0:1], vcc
	s_xor_b64 s[0:1], exec, s[0:1]
; %bb.25:                               ;   in Loop: Header=BB0_5 Depth=1
	v_and_b32_e32 v16, 0x1000000, v2
	v_cmp_eq_u64_e32 vcc, 0, v[16:17]
	v_bfe_u32 v16, v2, 24, 1
	v_cndmask_b32_e32 v7, v19, v20, vcc
	v_lshrrev_b64 v[2:3], v16, v[2:3]
; %bb.26:                               ;   in Loop: Header=BB0_5 Depth=1
	s_andn2_saveexec_b64 s[0:1], s[0:1]
; %bb.27:                               ;   in Loop: Header=BB0_5 Depth=1
	v_bfe_u32 v7, v2, 23, 1
; %bb.28:                               ;   in Loop: Header=BB0_5 Depth=1
	s_or_b64 exec, exec, s[0:1]
	v_lshrrev_b64 v[2:3], 20, v[2:3]
	v_cmp_gt_i32_e32 vcc, 16, v7
	v_cndmask_b32_e32 v21, 0, v3, vcc
	v_cndmask_b32_e32 v20, 7, v2, vcc
	v_cmp_ne_u32_e32 vcc, 0, v7
	v_cmp_ne_u64_e64 s[0:1], 0, v[20:21]
	s_or_b64 s[0:1], vcc, s[0:1]
                                        ; implicit-def: $vgpr2_vgpr3
	s_and_saveexec_b64 s[48:49], s[0:1]
	s_xor_b64 s[0:1], exec, s[48:49]
; %bb.29:                               ;   in Loop: Header=BB0_5 Depth=1
	v_min_i32_e32 v2, 15, v7
	v_lshl_or_b32 v2, v2, 3, v6
	v_and_or_b32 v2, v20, 7, v2
                                        ; implicit-def: $vgpr6
; %bb.30:                               ;   in Loop: Header=BB0_5 Depth=1
	s_andn2_saveexec_b64 s[0:1], s[0:1]
; %bb.31:                               ;   in Loop: Header=BB0_5 Depth=1
	v_pk_mov_b32 v[2:3], v[6:7], v[6:7] op_sel:[0,1]
; %bb.32:                               ;   in Loop: Header=BB0_5 Depth=1
	s_or_b64 exec, exec, s[0:1]
.LBB0_33:                               ;   in Loop: Header=BB0_5 Depth=1
	s_or_b64 exec, exec, s[20:21]
.LBB0_34:                               ;   in Loop: Header=BB0_5 Depth=1
	s_andn2_saveexec_b64 s[0:1], s[18:19]
	s_or_b64 exec, exec, s[0:1]
                                        ; implicit-def: $vgpr7
.LBB0_35:                               ;   in Loop: Header=BB0_5 Depth=1
	s_andn2_saveexec_b64 s[0:1], s[16:17]
; %bb.36:                               ;   in Loop: Header=BB0_5 Depth=1
	v_or_b32_sdwa v3, v7, s43 dst_sel:DWORD dst_unused:UNUSED_PAD src0_sel:BYTE_3 src1_sel:DWORD
	v_cmp_eq_u64_e32 vcc, 0, v[16:17]
	v_cndmask_b32_e32 v2, v3, v2, vcc
; %bb.37:                               ;   in Loop: Header=BB0_5 Depth=1
	s_or_b64 exec, exec, s[0:1]
	v_mul_f32_e32 v3, 0xbfb8aa3b, v4
	v_rndne_f32_e32 v6, v3
	v_sub_f32_e32 v7, v3, v6
	v_fma_f32 v3, v4, s9, -v3
	v_fmac_f32_e32 v3, 0xb2a5705f, v4
	v_add_f32_e32 v3, v7, v3
	v_cvt_i32_f32_e32 v6, v6
	v_exp_f32_e32 v3, v3
	v_cmp_nlt_f32_e32 vcc, s39, v4
	v_mov_b32_e32 v21, v17
	v_ldexp_f32 v3, v3, v6
	v_cndmask_b32_e32 v3, 0, v3, vcc
	v_cmp_ngt_f32_e32 vcc, s40, v4
	v_cndmask_b32_e32 v3, v24, v3, vcc
	v_add_f32_e32 v3, 1.0, v3
	v_div_scale_f32 v6, s[0:1], v3, v3, v4
	v_rcp_f32_e32 v7, v6
	v_fma_f32 v16, -v6, v7, 1.0
	v_fmac_f32_e32 v7, v16, v7
	v_div_scale_f32 v16, vcc, v4, v3, v4
	v_mul_f32_e32 v19, v16, v7
	v_fma_f32 v20, -v6, v19, v16
	v_fmac_f32_e32 v19, v20, v7
	v_fma_f32 v6, -v6, v19, v16
	v_div_fmas_f32 v6, v6, v7, v19
	v_div_fixup_f32 v3, v6, v3, v4
	v_mul_f32_e32 v3, v8, v3
	v_mul_f32_e32 v3, v10, v3
	v_min_f32_e32 v3, 0x43e00000, v3
	v_max_f32_e32 v3, 0xc3e00000, v3
	v_and_b32_sdwa v4, v3, s41 dst_sel:DWORD dst_unused:UNUSED_PAD src0_sel:BYTE_3 src1_sel:DWORD
	v_and_b32_e32 v20, 0x7f800000, v3
	v_and_b32_e32 v16, 0x7fffff, v3
	v_or_b32_e32 v6, 0x7e, v4
	v_cmp_ne_u64_e32 vcc, s[12:13], v[20:21]
	s_and_saveexec_b64 s[0:1], vcc
	s_xor_b64 s[16:17], exec, s[0:1]
	s_cbranch_execz .LBB0_51
; %bb.38:                               ;   in Loop: Header=BB0_5 Depth=1
	v_and_b32_e32 v20, 0x7fffffff, v3
	v_mov_b32_e32 v21, v17
	v_cmp_gt_u64_e32 vcc, s[14:15], v[20:21]
	s_and_saveexec_b64 s[0:1], vcc
	s_xor_b64 s[18:19], exec, s[0:1]
	s_cbranch_execz .LBB0_50
; %bb.39:                               ;   in Loop: Header=BB0_5 Depth=1
	v_cmp_ne_u32_e32 vcc, 0, v3
	v_pk_mov_b32 v[6:7], 0, 0
	s_and_saveexec_b64 s[20:21], vcc
	s_cbranch_execz .LBB0_49
; %bb.40:                               ;   in Loop: Header=BB0_5 Depth=1
	v_bfe_u32 v3, v3, 23, 8
	v_sub_u32_e64 v6, s42, v3 clamp
	v_cmp_eq_u32_e32 vcc, 0, v3
	v_add_u32_e32 v8, 0xffffff88, v3
	v_cndmask_b32_e32 v3, v6, v25, vcc
	v_or_b32_e32 v7, 0x800000, v16
	v_add_u32_e32 v6, 20, v3
	v_cndmask_b32_e32 v16, v7, v16, vcc
	v_lshlrev_b64 v[6:7], v6, -1
	v_not_b32_e32 v7, v7
	v_not_b32_e32 v6, v6
	v_add_u32_e32 v19, 19, v3
	v_and_b32_e32 v7, 0, v7
	v_and_b32_e32 v6, v16, v6
	v_lshlrev_b64 v[20:21], v19, 1
	v_cmp_eq_u64_e64 s[0:1], v[6:7], v[20:21]
	v_lshrrev_b64 v[6:7], v3, v[16:17]
	v_cndmask_b32_e32 v8, v8, v26, vcc
	v_lshrrev_b32_e32 v16, 23, v6
	v_add3_u32 v8, v8, v3, v16
	v_and_b32_e32 v16, 0x100000, v6
	v_cmp_eq_u64_e32 vcc, 0, v[16:17]
	s_and_b64 vcc, vcc, s[0:1]
	v_subbrev_co_u32_e32 v3, vcc, 0, v6, vcc
	v_and_b32_e32 v3, 0xfffff, v3
	v_add_co_u32_e32 v6, vcc, v3, v6
	v_add_u32_e32 v19, -1, v8
	v_addc_co_u32_e32 v7, vcc, 0, v7, vcc
	v_cmp_ne_u32_e32 vcc, 0, v19
                                        ; implicit-def: $vgpr3
	s_and_saveexec_b64 s[0:1], vcc
	s_xor_b64 s[0:1], exec, s[0:1]
; %bb.41:                               ;   in Loop: Header=BB0_5 Depth=1
	v_and_b32_e32 v16, 0x1000000, v6
	v_cmp_eq_u64_e32 vcc, 0, v[16:17]
	v_cndmask_b32_e32 v3, v8, v19, vcc
	v_bfe_u32 v8, v6, 24, 1
	v_lshrrev_b64 v[6:7], v8, v[6:7]
; %bb.42:                               ;   in Loop: Header=BB0_5 Depth=1
	s_andn2_saveexec_b64 s[0:1], s[0:1]
; %bb.43:                               ;   in Loop: Header=BB0_5 Depth=1
	v_bfe_u32 v3, v6, 23, 1
; %bb.44:                               ;   in Loop: Header=BB0_5 Depth=1
	s_or_b64 exec, exec, s[0:1]
	v_lshrrev_b64 v[6:7], 20, v[6:7]
	v_cmp_gt_i32_e32 vcc, 16, v3
	v_cndmask_b32_e32 v21, 0, v7, vcc
	v_cndmask_b32_e32 v20, 7, v6, vcc
	v_cmp_ne_u32_e32 vcc, 0, v3
	v_cmp_ne_u64_e64 s[0:1], 0, v[20:21]
	s_or_b64 s[0:1], vcc, s[0:1]
                                        ; implicit-def: $vgpr6_vgpr7
	s_and_saveexec_b64 s[48:49], s[0:1]
	s_xor_b64 s[0:1], exec, s[48:49]
; %bb.45:                               ;   in Loop: Header=BB0_5 Depth=1
	v_min_i32_e32 v3, 15, v3
	v_lshl_or_b32 v3, v3, 3, v4
	v_and_or_b32 v6, v20, 7, v3
                                        ; implicit-def: $vgpr4
; %bb.46:                               ;   in Loop: Header=BB0_5 Depth=1
	s_andn2_saveexec_b64 s[0:1], s[0:1]
; %bb.47:                               ;   in Loop: Header=BB0_5 Depth=1
	v_pk_mov_b32 v[6:7], v[4:5], v[4:5] op_sel:[0,1]
; %bb.48:                               ;   in Loop: Header=BB0_5 Depth=1
	s_or_b64 exec, exec, s[0:1]
.LBB0_49:                               ;   in Loop: Header=BB0_5 Depth=1
	s_or_b64 exec, exec, s[20:21]
.LBB0_50:                               ;   in Loop: Header=BB0_5 Depth=1
	s_andn2_saveexec_b64 s[0:1], s[18:19]
	s_or_b64 exec, exec, s[0:1]
                                        ; implicit-def: $vgpr3
.LBB0_51:                               ;   in Loop: Header=BB0_5 Depth=1
	s_andn2_saveexec_b64 s[0:1], s[16:17]
; %bb.52:                               ;   in Loop: Header=BB0_5 Depth=1
	v_or_b32_sdwa v3, v3, s43 dst_sel:DWORD dst_unused:UNUSED_PAD src0_sel:BYTE_3 src1_sel:DWORD
	v_cmp_eq_u64_e32 vcc, 0, v[16:17]
	v_cndmask_b32_e32 v6, v3, v6, vcc
; %bb.53:                               ;   in Loop: Header=BB0_5 Depth=1
	s_or_b64 exec, exec, s[0:1]
	v_mul_f32_e32 v3, 0xbfb8aa3b, v5
	v_rndne_f32_e32 v4, v3
	v_sub_f32_e32 v7, v3, v4
	v_fma_f32 v3, v5, s9, -v3
	v_fmac_f32_e32 v3, 0xb2a5705f, v5
	v_add_f32_e32 v3, v7, v3
	v_cvt_i32_f32_e32 v4, v4
	v_exp_f32_e32 v3, v3
	v_cmp_nlt_f32_e32 vcc, s39, v5
	v_mov_b32_e32 v21, v17
	v_ldexp_f32 v3, v3, v4
	v_cndmask_b32_e32 v3, 0, v3, vcc
	v_cmp_ngt_f32_e32 vcc, s40, v5
	v_cndmask_b32_e32 v3, v24, v3, vcc
	v_add_f32_e32 v3, 1.0, v3
	v_div_scale_f32 v4, s[0:1], v3, v3, v5
	v_rcp_f32_e32 v7, v4
	v_fma_f32 v8, -v4, v7, 1.0
	v_fmac_f32_e32 v7, v8, v7
	v_div_scale_f32 v8, vcc, v5, v3, v5
	v_mul_f32_e32 v16, v8, v7
	v_fma_f32 v19, -v4, v16, v8
	v_fmac_f32_e32 v16, v19, v7
	v_fma_f32 v4, -v4, v16, v8
	v_div_fmas_f32 v4, v4, v7, v16
	v_div_fixup_f32 v3, v4, v3, v5
	v_mul_f32_e32 v3, v9, v3
	v_mul_f32_e32 v3, v10, v3
	v_min_f32_e32 v3, 0x43e00000, v3
	v_max_f32_e32 v3, 0xc3e00000, v3
	v_and_b32_sdwa v4, v3, s41 dst_sel:DWORD dst_unused:UNUSED_PAD src0_sel:BYTE_3 src1_sel:DWORD
	v_and_b32_e32 v20, 0x7f800000, v3
	v_and_b32_e32 v16, 0x7fffff, v3
	v_or_b32_e32 v8, 0x7e, v4
	v_cmp_ne_u64_e32 vcc, s[12:13], v[20:21]
	s_and_saveexec_b64 s[0:1], vcc
	s_xor_b64 s[16:17], exec, s[0:1]
	s_cbranch_execz .LBB0_67
; %bb.54:                               ;   in Loop: Header=BB0_5 Depth=1
	v_and_b32_e32 v20, 0x7fffffff, v3
	v_mov_b32_e32 v21, v17
	v_cmp_gt_u64_e32 vcc, s[14:15], v[20:21]
	s_and_saveexec_b64 s[0:1], vcc
	s_xor_b64 s[18:19], exec, s[0:1]
	s_cbranch_execz .LBB0_66
; %bb.55:                               ;   in Loop: Header=BB0_5 Depth=1
	v_cmp_ne_u32_e32 vcc, 0, v3
	v_pk_mov_b32 v[8:9], 0, 0
	s_and_saveexec_b64 s[20:21], vcc
	s_cbranch_execz .LBB0_65
; %bb.56:                               ;   in Loop: Header=BB0_5 Depth=1
	v_bfe_u32 v3, v3, 23, 8
	v_sub_u32_e64 v5, s42, v3 clamp
	v_cmp_eq_u32_e32 vcc, 0, v3
	v_add_u32_e32 v19, 0xffffff88, v3
	v_cndmask_b32_e32 v3, v5, v25, vcc
	v_add_u32_e32 v5, 20, v3
	v_lshlrev_b64 v[8:9], v5, -1
	v_or_b32_e32 v7, 0x800000, v16
	v_not_b32_e32 v5, v9
	v_cndmask_b32_e32 v16, v7, v16, vcc
	v_not_b32_e32 v7, v8
	v_and_b32_e32 v9, 0, v5
	v_add_u32_e32 v5, 19, v3
	v_and_b32_e32 v8, v16, v7
	v_lshlrev_b64 v[20:21], v5, 1
	v_cmp_eq_u64_e64 s[0:1], v[8:9], v[20:21]
	v_lshrrev_b64 v[8:9], v3, v[16:17]
	v_and_b32_e32 v16, 0x100000, v8
	v_cndmask_b32_e32 v5, v19, v26, vcc
	v_cmp_eq_u64_e32 vcc, 0, v[16:17]
	v_lshrrev_b32_e32 v7, 23, v8
	s_and_b64 vcc, vcc, s[0:1]
	v_add3_u32 v5, v5, v3, v7
	v_subbrev_co_u32_e32 v3, vcc, 0, v8, vcc
	v_and_b32_e32 v3, 0xfffff, v3
	v_add_co_u32_e32 v8, vcc, v3, v8
	v_add_u32_e32 v7, -1, v5
	v_addc_co_u32_e32 v9, vcc, 0, v9, vcc
	v_cmp_ne_u32_e32 vcc, 0, v7
                                        ; implicit-def: $vgpr3
	s_and_saveexec_b64 s[0:1], vcc
	s_xor_b64 s[0:1], exec, s[0:1]
; %bb.57:                               ;   in Loop: Header=BB0_5 Depth=1
	v_and_b32_e32 v16, 0x1000000, v8
	v_cmp_eq_u64_e32 vcc, 0, v[16:17]
	v_cndmask_b32_e32 v3, v5, v7, vcc
	v_bfe_u32 v5, v8, 24, 1
	v_lshrrev_b64 v[8:9], v5, v[8:9]
; %bb.58:                               ;   in Loop: Header=BB0_5 Depth=1
	s_andn2_saveexec_b64 s[0:1], s[0:1]
; %bb.59:                               ;   in Loop: Header=BB0_5 Depth=1
	v_bfe_u32 v3, v8, 23, 1
; %bb.60:                               ;   in Loop: Header=BB0_5 Depth=1
	s_or_b64 exec, exec, s[0:1]
	v_lshrrev_b64 v[8:9], 20, v[8:9]
	v_cmp_gt_i32_e32 vcc, 16, v3
	v_cndmask_b32_e32 v21, 0, v9, vcc
	v_cndmask_b32_e32 v20, 7, v8, vcc
	v_cmp_ne_u32_e32 vcc, 0, v3
	v_cmp_ne_u64_e64 s[0:1], 0, v[20:21]
	s_or_b64 s[0:1], vcc, s[0:1]
                                        ; implicit-def: $vgpr8_vgpr9
	s_and_saveexec_b64 s[48:49], s[0:1]
	s_xor_b64 s[0:1], exec, s[48:49]
; %bb.61:                               ;   in Loop: Header=BB0_5 Depth=1
	v_min_i32_e32 v3, 15, v3
	v_lshl_or_b32 v3, v3, 3, v4
	v_and_or_b32 v8, v20, 7, v3
                                        ; implicit-def: $vgpr4
; %bb.62:                               ;   in Loop: Header=BB0_5 Depth=1
	s_andn2_saveexec_b64 s[0:1], s[0:1]
; %bb.63:                               ;   in Loop: Header=BB0_5 Depth=1
	v_pk_mov_b32 v[8:9], v[4:5], v[4:5] op_sel:[0,1]
; %bb.64:                               ;   in Loop: Header=BB0_5 Depth=1
	s_or_b64 exec, exec, s[0:1]
.LBB0_65:                               ;   in Loop: Header=BB0_5 Depth=1
	s_or_b64 exec, exec, s[20:21]
.LBB0_66:                               ;   in Loop: Header=BB0_5 Depth=1
	s_andn2_saveexec_b64 s[0:1], s[18:19]
	s_or_b64 exec, exec, s[0:1]
                                        ; implicit-def: $vgpr3
.LBB0_67:                               ;   in Loop: Header=BB0_5 Depth=1
	s_andn2_saveexec_b64 s[0:1], s[16:17]
	s_cbranch_execz .LBB0_4
; %bb.68:                               ;   in Loop: Header=BB0_5 Depth=1
	v_or_b32_sdwa v3, v3, s43 dst_sel:DWORD dst_unused:UNUSED_PAD src0_sel:BYTE_3 src1_sel:DWORD
	v_cmp_eq_u64_e32 vcc, 0, v[16:17]
	v_cndmask_b32_e32 v8, v3, v8, vcc
	s_branch .LBB0_4
.LBB0_69:
	s_or_b64 exec, exec, s[4:5]
	s_sub_i32 s0, 4, s24
	s_cmp_gt_i32 s34, s0
	s_cbranch_scc0 .LBB0_100
; %bb.70:
	v_add_u32_e32 v0, s0, v0
	v_cmp_gt_i32_e32 vcc, s34, v0
	s_and_saveexec_b64 s[0:1], vcc
	s_cbranch_execz .LBB0_100
; %bb.71:
	s_load_dword s2, s[2:3], 0xc
	s_ashr_i32 s35, s34, 31
	v_mov_b32_e32 v2, s35
	v_mov_b32_e32 v1, 0
	s_mov_b32 s33, 0
	s_waitcnt lgkmcnt(0)
	s_and_b32 s54, s2, 0xffff
	v_add_co_u32_e32 v4, vcc, s54, v0
	v_addc_co_u32_e64 v5, s[0:1], 0, 0, vcc
	v_cmp_gt_i64_e32 vcc, s[34:35], v[4:5]
	v_cndmask_b32_e32 v6, v5, v2, vcc
	v_mov_b32_e32 v2, s34
	v_cndmask_b32_e32 v3, v4, v2, vcc
	v_cndmask_b32_e64 v2, 0, 1, vcc
	v_add_co_u32_e32 v4, vcc, v4, v2
	v_addc_co_u32_e32 v5, vcc, 0, v5, vcc
	v_sub_co_u32_e32 v3, vcc, v3, v4
	v_cmp_gt_u16_e64 s[0:1], s2, 1
	v_subb_co_u32_e32 v5, vcc, v6, v5, vcc
	s_and_b64 s[0:1], s[0:1], exec
	v_mov_b32_e32 v4, v1
	s_cselect_b32 s0, 0, 0
	s_cselect_b32 s4, s54, 1
	v_cmp_ne_u64_e32 vcc, 0, v[4:5]
                                        ; implicit-def: $vgpr6_vgpr7
	s_and_saveexec_b64 s[2:3], vcc
	s_xor_b64 s[2:3], exec, s[2:3]
	s_cbranch_execz .LBB0_73
; %bb.72:
	v_cvt_f32_u32_e32 v4, s4
	v_mov_b32_e32 v6, 0x4f800000
	s_sub_u32 s1, 0, s4
	s_subb_u32 s0, 0, s0
	v_mac_f32_e32 v4, 0, v6
	v_rcp_f32_e32 v4, v4
	v_mul_f32_e32 v4, 0x5f7ffffc, v4
	v_mul_f32_e32 v6, 0x2f800000, v4
	v_trunc_f32_e32 v6, v6
	v_madmk_f32 v4, v6, 0xcf800000, v4
	v_cvt_u32_f32_e32 v6, v6
	v_cvt_u32_f32_e32 v4, v4
	v_mul_lo_u32 v7, s1, v6
	v_mul_hi_u32 v9, s1, v4
	v_mul_lo_u32 v8, s0, v4
	v_add_u32_e32 v7, v9, v7
	v_mul_lo_u32 v11, s1, v4
	v_add_u32_e32 v7, v7, v8
	v_mul_hi_u32 v9, v4, v11
	v_mul_lo_u32 v12, v4, v7
	v_mul_hi_u32 v8, v4, v7
	v_add_co_u32_e32 v9, vcc, v9, v12
	v_addc_co_u32_e32 v8, vcc, 0, v8, vcc
	v_mul_hi_u32 v13, v6, v11
	v_mul_lo_u32 v11, v6, v11
	v_add_co_u32_e32 v9, vcc, v9, v11
	v_mul_hi_u32 v12, v6, v7
	v_addc_co_u32_e32 v8, vcc, v8, v13, vcc
	v_addc_co_u32_e32 v9, vcc, 0, v12, vcc
	v_mul_lo_u32 v7, v6, v7
	v_add_co_u32_e32 v7, vcc, v8, v7
	v_addc_co_u32_e32 v8, vcc, 0, v9, vcc
	v_add_co_u32_e32 v4, vcc, v4, v7
	v_addc_co_u32_e32 v6, vcc, v6, v8, vcc
	v_mul_lo_u32 v7, s1, v6
	v_mul_hi_u32 v8, s1, v4
	v_add_u32_e32 v7, v8, v7
	v_mul_lo_u32 v8, s0, v4
	v_add_u32_e32 v7, v7, v8
	v_mul_lo_u32 v9, s1, v4
	v_mul_hi_u32 v11, v6, v9
	v_mul_lo_u32 v12, v6, v9
	v_mul_lo_u32 v14, v4, v7
	v_mul_hi_u32 v9, v4, v9
	v_mul_hi_u32 v13, v4, v7
	v_add_co_u32_e32 v9, vcc, v9, v14
	v_addc_co_u32_e32 v13, vcc, 0, v13, vcc
	v_add_co_u32_e32 v9, vcc, v9, v12
	v_mul_hi_u32 v8, v6, v7
	v_addc_co_u32_e32 v9, vcc, v13, v11, vcc
	v_addc_co_u32_e32 v8, vcc, 0, v8, vcc
	v_mul_lo_u32 v7, v6, v7
	v_add_co_u32_e32 v7, vcc, v9, v7
	v_addc_co_u32_e32 v8, vcc, 0, v8, vcc
	v_add_co_u32_e32 v4, vcc, v4, v7
	v_addc_co_u32_e32 v8, vcc, v6, v8, vcc
	v_mad_u64_u32 v[6:7], s[0:1], v3, v8, 0
	v_mul_hi_u32 v9, v3, v4
	v_add_co_u32_e32 v11, vcc, v9, v6
	v_addc_co_u32_e32 v12, vcc, 0, v7, vcc
	v_mad_u64_u32 v[6:7], s[0:1], v5, v8, 0
	v_mad_u64_u32 v[8:9], s[0:1], v5, v4, 0
	v_add_co_u32_e32 v4, vcc, v11, v8
	v_addc_co_u32_e32 v4, vcc, v12, v9, vcc
	v_addc_co_u32_e32 v7, vcc, 0, v7, vcc
	v_add_co_u32_e32 v11, vcc, v4, v6
	v_addc_co_u32_e32 v12, vcc, 0, v7, vcc
	v_mad_u64_u32 v[6:7], s[0:1], s4, v11, 0
	v_mov_b32_e32 v4, v7
	v_mad_u64_u32 v[8:9], s[0:1], s4, v12, v[4:5]
	v_sub_co_u32_e32 v3, vcc, v3, v6
	v_subb_co_u32_e32 v4, vcc, v5, v8, vcc
	v_subrev_co_u32_e32 v5, vcc, s4, v3
	v_subbrev_co_u32_e32 v6, vcc, 0, v4, vcc
	v_cmp_le_u32_e32 vcc, s4, v5
	v_cndmask_b32_e64 v5, 0, -1, vcc
	v_cmp_eq_u32_e32 vcc, 0, v6
	v_cndmask_b32_e32 v5, -1, v5, vcc
	v_add_co_u32_e32 v6, vcc, 2, v11
	v_addc_co_u32_e32 v7, vcc, 0, v12, vcc
	v_add_co_u32_e32 v8, vcc, 1, v11
	v_cmp_le_u32_e64 s[0:1], s4, v3
	v_addc_co_u32_e32 v9, vcc, 0, v12, vcc
	v_cndmask_b32_e64 v3, 0, -1, s[0:1]
	v_cmp_eq_u32_e64 s[0:1], 0, v4
	v_cmp_ne_u32_e32 vcc, 0, v5
	v_cndmask_b32_e64 v3, -1, v3, s[0:1]
	v_cndmask_b32_e32 v5, v9, v7, vcc
	v_cmp_ne_u32_e64 s[0:1], 0, v3
	v_cndmask_b32_e32 v3, v8, v6, vcc
	v_cndmask_b32_e64 v7, v12, v5, s[0:1]
	v_cndmask_b32_e64 v6, v11, v3, s[0:1]
                                        ; implicit-def: $vgpr3
.LBB0_73:
	s_andn2_saveexec_b64 s[0:1], s[2:3]
	s_cbranch_execz .LBB0_75
; %bb.74:
	v_cvt_f32_u32_e32 v4, s4
	s_sub_i32 s2, 0, s4
	v_mov_b32_e32 v7, 0
	v_rcp_iflag_f32_e32 v4, v4
	v_mul_f32_e32 v4, 0x4f7ffffe, v4
	v_cvt_u32_f32_e32 v4, v4
	v_mul_lo_u32 v5, s2, v4
	v_mul_hi_u32 v5, v4, v5
	v_add_u32_e32 v4, v4, v5
	v_mul_hi_u32 v4, v3, v4
	v_mul_lo_u32 v5, v4, s4
	v_sub_u32_e32 v3, v3, v5
	v_add_u32_e32 v6, 1, v4
	v_subrev_u32_e32 v5, s4, v3
	v_cmp_le_u32_e32 vcc, s4, v3
	v_cndmask_b32_e32 v3, v3, v5, vcc
	v_cndmask_b32_e32 v4, v4, v6, vcc
	v_add_u32_e32 v5, 1, v4
	v_cmp_le_u32_e32 vcc, s4, v3
	v_cndmask_b32_e32 v6, v4, v5, vcc
.LBB0_75:
	s_or_b64 exec, exec, s[0:1]
	v_add_co_u32_e32 v2, vcc, v6, v2
	v_addc_co_u32_e32 v3, vcc, 0, v7, vcc
	v_add_co_u32_e32 v2, vcc, 1, v2
	v_addc_co_u32_e32 v3, vcc, 0, v3, vcc
	v_cmp_gt_u64_e32 vcc, 2, v[2:3]
	v_cmp_ne_u16_e64 s[0:1], s54, 1
                                        ; kill: def $vgpr4_vgpr5 killed $sgpr0_sgpr1 killed $exec
	s_or_b64 s[4:5], vcc, s[0:1]
	s_mov_b64 s[38:39], 0
	v_mov_b32_e32 v5, v3
                                        ; implicit-def: $sgpr2_sgpr3
                                        ; implicit-def: $sgpr0_sgpr1
	s_and_saveexec_b64 s[8:9], s[4:5]
	s_xor_b64 s[4:5], exec, s[8:9]
; %bb.76:
	s_lshl_b64 s[0:1], s[6:7], 3
	s_or_b32 s0, s0, 4
	s_mul_i32 s2, s0, s23
	s_mul_hi_u32 s3, s0, s22
	s_add_i32 s2, s3, s2
	s_mul_i32 s1, s1, s22
	s_mov_b64 s[38:39], exec
	s_add_i32 s3, s2, s1
	s_mul_i32 s2, s0, s22
	s_lshl_b64 s[0:1], s[36:37], 3
                                        ; implicit-def: $vgpr2_vgpr3
                                        ; implicit-def: $vgpr5
; %bb.77:
	s_or_saveexec_b64 s[40:41], s[4:5]
	v_pk_mov_b32 v[6:7], s[2:3], s[2:3] op_sel:[0,1]
	v_pk_mov_b32 v[8:9], s[0:1], s[0:1] op_sel:[0,1]
	s_xor_b64 exec, exec, s[40:41]
	s_cbranch_execz .LBB0_81
; %bb.78:
	s_lshl_b64 s[0:1], s[6:7], 3
	s_or_b32 s0, s0, 4
	s_mul_i32 s3, s0, s23
	s_mul_hi_u32 s4, s0, s22
	s_add_i32 s3, s4, s3
	s_mul_i32 s1, s1, s22
	s_lshl_b64 s[42:43], s[36:37], 3
	v_lshlrev_b32_e32 v6, 2, v0
	s_lshl_b32 s55, s54, 3
	s_add_i32 s45, s3, s1
	v_mov_b32_e32 v7, s31
	v_add_co_u32_e32 v6, vcc, s30, v6
	s_mul_i32 s44, s0, s22
	s_add_u32 s0, s28, s36
	v_addc_co_u32_e32 v7, vcc, 0, v7, vcc
	s_addc_u32 s1, s29, s37
	v_and_b32_e32 v4, -2, v2
	s_mov_b32 s2, 0
	v_mov_b32_e32 v9, s1
	v_add_co_u32_e32 v8, vcc, s0, v0
	v_mov_b32_e32 v11, v10
	v_addc_co_u32_e32 v9, vcc, 0, v9, vcc
	s_lshl_b32 s56, s54, 1
	s_mov_b64 s[46:47], 0
	v_mov_b32_e32 v46, s43
	v_mov_b32_e32 v47, s45
	s_mov_b32 s57, 0xbfb8aa3b
	s_mov_b32 s58, 0x42ce8ed0
	;; [unrolled: 1-line block ×3, first 2 shown]
	v_mov_b32_e32 v48, 0x7f800000
	s_movk_i32 s60, 0x80
	s_mov_b64 s[48:49], 0x7f800000
	s_mov_b64 s[50:51], 0x43e00000
	;; [unrolled: 1-line block ×3, first 2 shown]
	s_movk_i32 s61, 0x79
	v_mov_b32_e32 v49, 0x78
	v_mov_b32_e32 v50, 0xffffff89
	s_movk_i32 s62, 0x7f
	v_mov_b32_e32 v51, s2
	v_mov_b32_e32 v52, s2
	;; [unrolled: 1-line block ×3, first 2 shown]
	v_pk_mov_b32 v[14:15], v[4:5], v[4:5] op_sel:[0,1]
.LBB0_79:                               ; =>This Inner Loop Header: Depth=1
	v_add_co_u32_e32 v26, vcc, s42, v6
	v_addc_co_u32_e32 v27, vcc, v7, v46, vcc
	v_add_co_u32_e32 v28, vcc, s44, v6
	v_addc_co_u32_e32 v29, vcc, v7, v47, vcc
	global_load_dwordx2 v[54:55], v[26:27], off
	global_load_dwordx2 v[56:57], v[28:29], off
	v_add_co_u32_e32 v14, vcc, -2, v14
	v_addc_co_u32_e32 v15, vcc, -1, v15, vcc
	v_add_co_u32_e32 v6, vcc, s55, v6
	v_addc_co_u32_e32 v7, vcc, v7, v51, vcc
	v_mov_b32_e32 v31, v13
	v_mov_b32_e32 v35, v13
	v_mov_b32_e32 v33, v13
	v_mov_b32_e32 v37, v13
	v_mov_b32_e32 v17, v13
	v_mov_b32_e32 v19, v13
	v_mov_b32_e32 v21, v13
	v_mov_b32_e32 v25, v13
	v_mov_b32_e32 v45, v13
	v_mov_b32_e32 v23, v13
	v_mov_b32_e32 v39, v13
	v_mov_b32_e32 v43, v13
	v_mov_b32_e32 v41, v13
	v_cmp_eq_u64_e64 s[0:1], 0, v[14:15]
	s_waitcnt vmcnt(1)
	v_mul_f32_e32 v12, 0xbfb8aa3b, v55
	v_mul_f32_e32 v16, 0xbfb8aa3b, v54
	v_fma_f32 v18, v55, s57, -v12
	v_rndne_f32_e32 v20, v12
	v_fma_f32 v22, v54, s57, -v16
	v_rndne_f32_e32 v24, v16
	v_fmac_f32_e32 v18, 0xb2a5705f, v55
	v_sub_f32_e32 v12, v12, v20
	v_fmac_f32_e32 v22, 0xb2a5705f, v54
	v_sub_f32_e32 v16, v16, v24
	v_add_f32_e32 v12, v12, v18
	v_add_f32_e32 v16, v16, v22
	v_cvt_i32_f32_e32 v20, v20
	v_cvt_i32_f32_e32 v24, v24
	v_exp_f32_e32 v12, v12
	v_exp_f32_e32 v16, v16
	v_cmp_nlt_f32_e32 vcc, s58, v54
	v_cmp_nlt_f32_e64 s[2:3], s58, v55
	v_ldexp_f32 v12, v12, v20
	v_ldexp_f32 v16, v16, v24
	v_cndmask_b32_e64 v12, 0, v12, s[2:3]
	v_cndmask_b32_e32 v16, 0, v16, vcc
	v_cmp_ngt_f32_e32 vcc, s59, v54
	v_cmp_ngt_f32_e64 s[2:3], s59, v55
	v_cndmask_b32_e64 v27, v48, v12, s[2:3]
	v_cndmask_b32_e32 v26, v48, v16, vcc
	v_pk_add_f32 v[26:27], v[26:27], 1.0 op_sel_hi:[1,0]
	v_div_scale_f32 v12, s[2:3], v27, v27, v55
	v_div_scale_f32 v18, s[2:3], v26, v26, v54
	v_rcp_f32_e32 v22, v12
	v_rcp_f32_e32 v24, v18
	v_div_scale_f32 v16, vcc, v55, v27, v55
	v_fma_f32 v28, -v12, v22, 1.0
	v_fma_f32 v29, -v18, v24, 1.0
	v_fmac_f32_e32 v22, v28, v22
	v_div_scale_f32 v20, s[2:3], v54, v26, v54
	v_fmac_f32_e32 v24, v29, v24
	v_mul_f32_e32 v28, v16, v22
	v_mul_f32_e32 v29, v20, v24
	v_fma_f32 v30, -v12, v28, v16
	v_fmac_f32_e32 v28, v30, v22
	v_fma_f32 v30, -v18, v29, v20
	v_fmac_f32_e32 v29, v30, v24
	v_fma_f32 v12, -v12, v28, v16
	v_fma_f32 v16, -v18, v29, v20
	v_div_fmas_f32 v12, v12, v22, v28
	s_mov_b64 vcc, s[2:3]
	v_div_fixup_f32 v27, v12, v27, v55
	v_div_fmas_f32 v12, v16, v24, v29
	v_div_fixup_f32 v26, v12, v26, v54
	s_waitcnt vmcnt(0)
	v_pk_mul_f32 v[26:27], v[56:57], v[26:27]
	v_pk_mul_f32 v[26:27], v[10:11], v[26:27]
	v_min_f32_e32 v12, 0x43e00000, v26
	v_min_f32_e32 v16, 0x43e00000, v27
	v_max_f32_e32 v20, 0xc3e00000, v12
	v_max_f32_e32 v18, 0xc3e00000, v16
	v_and_b32_e32 v30, 0x7f800000, v20
	v_and_b32_e32 v34, 0x7fffffff, v20
	;; [unrolled: 1-line block ×4, first 2 shown]
	v_bfe_u32 v22, v20, 23, 8
	v_bfe_u32 v24, v18, 23, 8
	v_and_b32_e32 v32, 0x7f800000, v18
	v_and_b32_e32 v36, 0x7fffffff, v18
	v_cmp_ne_u64_e64 s[10:11], s[48:49], v[30:31]
	v_cmp_lt_u64_e64 s[12:13], s[50:51], v[34:35]
	v_cmp_gt_u64_e64 s[18:19], s[52:53], v[34:35]
	v_and_b32_sdwa v53, v18, s60 dst_sel:DWORD dst_unused:UNUSED_PAD src0_sel:BYTE_3 src1_sel:DWORD
	v_and_b32_sdwa v54, v20, s60 dst_sel:DWORD dst_unused:UNUSED_PAD src0_sel:BYTE_3 src1_sel:DWORD
	v_cmp_eq_u32_e32 vcc, 0, v18
	v_cmp_eq_u32_e64 s[2:3], 0, v20
	v_cmp_ne_u32_e64 s[4:5], 0, v20
	v_cmp_ne_u32_e64 s[6:7], 0, v18
	v_or_b32_sdwa v28, v20, s62 dst_sel:DWORD dst_unused:UNUSED_PAD src0_sel:BYTE_3 src1_sel:DWORD
	v_or_b32_sdwa v29, v18, s62 dst_sel:DWORD dst_unused:UNUSED_PAD src0_sel:BYTE_3 src1_sel:DWORD
	v_cmp_ne_u64_e64 s[8:9], s[48:49], v[32:33]
	v_cmp_lt_u64_e64 s[14:15], s[50:51], v[36:37]
	v_cmp_gt_u64_e64 s[16:17], s[52:53], v[36:37]
	v_sub_u32_e64 v18, s61, v24 clamp
	v_cmp_eq_u32_e64 s[20:21], 0, v24
	v_sub_u32_e64 v20, s61, v22 clamp
	v_or_b32_e32 v27, 0x800000, v16
	v_cmp_eq_u64_e64 s[24:25], 0, v[12:13]
	v_cmp_eq_u32_e64 s[26:27], 0, v22
	s_and_b64 s[18:19], s[10:11], s[18:19]
	s_and_b64 s[10:11], s[10:11], s[12:13]
	v_or_b32_e32 v38, 0x7e, v54
	v_or_b32_e32 v26, 0x800000, v12
	v_add_u32_e32 v30, 0xffffff88, v22
	v_cmp_eq_u64_e64 s[22:23], 0, v[16:17]
	s_and_b64 s[16:17], s[8:9], s[16:17]
	v_cndmask_b32_e64 v22, v20, v49, s[26:27]
	v_cndmask_b32_e64 v36, v18, v49, s[20:21]
	;; [unrolled: 1-line block ×3, first 2 shown]
	s_and_b64 s[8:9], s[8:9], s[14:15]
	s_and_b64 s[14:15], s[18:19], s[4:5]
	s_or_b64 s[4:5], s[10:11], s[24:25]
	v_or_b32_e32 v40, 0x7e, v53
	v_cndmask_b32_e64 v20, v26, v12, s[26:27]
	v_cndmask_b32_e64 v12, v30, v50, s[26:27]
	v_add_u32_e32 v30, 20, v36
	v_add_u32_e32 v31, 20, v22
	v_lshrrev_b64 v[26:27], v36, v[18:19]
	v_cndmask_b32_e64 v19, v28, v38, s[4:5]
	s_and_b64 s[4:5], s[18:19], s[2:3]
	s_or_b64 s[2:3], s[8:9], s[22:23]
	v_add_u32_e32 v24, 0xffffff88, v24
	v_lshrrev_b64 v[16:17], v22, v[20:21]
	v_cndmask_b32_e64 v21, v29, v40, s[2:3]
	v_lshlrev_b64 v[28:29], v31, -1
	v_lshlrev_b64 v[30:31], v30, -1
	v_cndmask_b32_e64 v24, v24, v50, s[20:21]
	v_add_u32_e32 v34, 19, v36
	v_lshrrev_b32_e32 v31, 23, v26
	v_cndmask_b32_e64 v37, v19, 0, s[4:5]
	v_not_b32_e32 v19, v30
	v_lshlrev_b64 v[34:35], v34, 1
	v_and_b32_e32 v44, 0x100000, v26
	v_add3_u32 v30, v24, v36, v31
	v_and_b32_e32 v24, v18, v19
	v_add_u32_e32 v32, 19, v22
	s_and_b64 s[2:3], s[16:17], vcc
	v_lshrrev_b32_e32 v29, 23, v16
	v_not_b32_e32 v28, v28
	v_cmp_eq_u64_e32 vcc, 0, v[44:45]
	v_cmp_eq_u64_e64 s[4:5], v[24:25], v[34:35]
	v_lshlrev_b64 v[32:33], v32, 1
	v_and_b32_e32 v38, 0x100000, v16
	v_add3_u32 v12, v12, v22, v29
	v_and_b32_e32 v22, v20, v28
	s_and_b64 vcc, vcc, s[4:5]
	s_and_b64 s[12:13], s[16:17], s[6:7]
	v_cndmask_b32_e64 v21, v21, 0, s[2:3]
	v_cmp_eq_u64_e64 s[2:3], 0, v[38:39]
	v_cmp_eq_u64_e64 s[6:7], v[22:23], v[32:33]
	v_subbrev_co_u32_e32 v18, vcc, 0, v26, vcc
	s_and_b64 vcc, s[2:3], s[6:7]
	v_subbrev_co_u32_e32 v19, vcc, 0, v16, vcc
	v_and_b32_e32 v18, 0xfffff, v18
	v_add_co_u32_e32 v18, vcc, v18, v26
	v_and_b32_e32 v22, 0xfffff, v19
	v_addc_co_u32_e32 v19, vcc, 0, v27, vcc
	v_add_co_u32_e32 v16, vcc, v22, v16
	v_add_u32_e32 v20, -1, v12
	v_add_u32_e32 v28, -1, v30
	v_addc_co_u32_e32 v17, vcc, 0, v17, vcc
	v_and_b32_e32 v42, 0x1000000, v16
	v_and_b32_e32 v40, 0x1000000, v18
	v_cmp_ne_u32_e64 s[8:9], 0, v28
	v_cmp_ne_u32_e64 s[10:11], 0, v20
	v_cmp_eq_u64_e32 vcc, 0, v[42:43]
	v_cmp_eq_u64_e64 s[2:3], 0, v[40:41]
	v_bfe_u32 v23, v18, 23, 1
	v_cndmask_b32_e32 v12, v12, v20, vcc
	s_and_b64 vcc, s[14:15], s[10:11]
	v_cndmask_b32_e64 v20, v30, v28, s[2:3]
	s_and_b64 s[2:3], s[12:13], s[8:9]
	v_bfe_u32 v22, v16, 23, 1
	v_cndmask_b32_e64 v20, v23, v20, s[2:3]
	v_cndmask_b32_e64 v23, 0, 1, vcc
	v_cndmask_b32_e32 v12, v22, v12, vcc
	v_cndmask_b32_e64 v22, 0, 1, s[2:3]
	v_and_b32_sdwa v23, v23, v16 dst_sel:DWORD dst_unused:UNUSED_PAD src0_sel:DWORD src1_sel:BYTE_3
	v_and_b32_sdwa v22, v22, v18 dst_sel:DWORD dst_unused:UNUSED_PAD src0_sel:DWORD src1_sel:BYTE_3
	v_lshrrev_b64 v[16:17], v23, v[16:17]
	v_lshrrev_b64 v[18:19], v22, v[18:19]
	;; [unrolled: 1-line block ×3, first 2 shown]
	v_cmp_gt_i32_e64 s[6:7], 16, v12
	v_lshrrev_b64 v[18:19], 20, v[18:19]
	v_cmp_gt_i32_e64 s[4:5], 16, v20
	v_cndmask_b32_e64 v17, 0, v17, s[6:7]
	v_cndmask_b32_e64 v16, 7, v16, s[6:7]
	v_cmp_eq_u32_e64 s[2:3], 0, v12
	v_cndmask_b32_e64 v19, 0, v19, s[4:5]
	v_cndmask_b32_e64 v18, 7, v18, s[4:5]
	v_cmp_eq_u64_e64 s[6:7], 0, v[16:17]
	v_cmp_eq_u32_e32 vcc, 0, v20
	v_cmp_eq_u64_e64 s[4:5], 0, v[18:19]
	s_and_b64 s[2:3], s[2:3], s[6:7]
	v_min_i32_e32 v24, 15, v20
	s_and_b64 s[4:5], vcc, s[4:5]
	s_and_b64 vcc, s[14:15], s[2:3]
	v_min_i32_e32 v25, 15, v12
	v_lshl_or_b32 v23, v24, 3, v53
	s_xor_b64 s[6:7], s[4:5], -1
	v_cndmask_b32_e32 v17, v37, v54, vcc
	s_and_b64 vcc, s[12:13], s[4:5]
	v_lshl_or_b32 v22, v25, 3, v54
	v_and_or_b32 v12, v18, 7, v23
	s_xor_b64 s[8:9], s[2:3], -1
	v_cndmask_b32_e32 v18, v21, v53, vcc
	s_and_b64 vcc, s[12:13], s[6:7]
	v_and_or_b32 v16, v16, 7, v22
	v_cndmask_b32_e32 v12, v18, v12, vcc
	s_and_b64 vcc, s[14:15], s[8:9]
	v_cndmask_b32_e32 v16, v17, v16, vcc
	v_lshlrev_b16_e32 v12, 8, v12
	v_or_b32_sdwa v12, v16, v12 dst_sel:DWORD dst_unused:UNUSED_PAD src0_sel:BYTE_0 src1_sel:DWORD
	global_store_short v[8:9], v12, off
	v_add_co_u32_e32 v8, vcc, s56, v8
	s_or_b64 s[46:47], s[0:1], s[46:47]
	v_addc_co_u32_e32 v9, vcc, v9, v52, vcc
	s_andn2_b64 exec, exec, s[46:47]
	s_cbranch_execnz .LBB0_79
; %bb.80:
	s_or_b64 exec, exec, s[46:47]
	v_mad_u64_u32 v[0:1], s[0:1], v4, s54, v[0:1]
	v_mov_b32_e32 v6, v1
	v_mad_u64_u32 v[6:7], s[0:1], v5, s54, v[6:7]
	v_cmp_ne_u64_e32 vcc, v[2:3], v[4:5]
	s_andn2_b64 s[0:1], s[38:39], exec
	s_and_b64 s[2:3], vcc, exec
	v_mov_b32_e32 v1, v6
	v_pk_mov_b32 v[6:7], s[44:45], s[44:45] op_sel:[0,1]
	v_pk_mov_b32 v[8:9], s[42:43], s[42:43] op_sel:[0,1]
	s_or_b64 s[38:39], s[0:1], s[2:3]
.LBB0_81:
	s_or_b64 exec, exec, s[40:41]
	s_and_b64 exec, exec, s[38:39]
	s_cbranch_execz .LBB0_100
; %bb.82:
	v_lshlrev_b64 v[2:3], 2, v[0:1]
	s_add_u32 s14, s28, s36
	v_mov_b32_e32 v4, s31
	v_add_co_u32_e32 v2, vcc, s30, v2
	s_addc_u32 s15, s29, s37
	v_addc_co_u32_e32 v3, vcc, v4, v3, vcc
	s_lshl_b32 s16, s54, 2
	s_mov_b32 s17, 0
	s_mov_b64 s[2:3], 0
	s_mov_b32 s18, 0xbfb8aa3b
	s_mov_b32 s19, 0x42ce8ed0
	;; [unrolled: 1-line block ×3, first 2 shown]
	v_mov_b32_e32 v11, 0x7f800000
	v_mov_b32_e32 v5, 0
	s_movk_i32 s21, 0x80
	s_mov_b64 s[4:5], 0x7f800000
	s_mov_b64 s[6:7], 0x43e00001
	s_movk_i32 s22, 0x79
	s_movk_i32 s23, 0x7f
	v_mov_b32_e32 v14, 0x78
	v_mov_b32_e32 v15, 0xffffff89
	s_branch .LBB0_84
.LBB0_83:                               ;   in Loop: Header=BB0_84 Depth=1
	s_or_b64 exec, exec, s[0:1]
	v_mov_b32_e32 v4, s15
	v_add_co_u32_e32 v16, vcc, s14, v0
	v_addc_co_u32_e32 v17, vcc, v4, v1, vcc
	v_mov_b32_e32 v4, s33
	v_add_co_u32_e32 v0, vcc, s54, v0
	v_addc_co_u32_e32 v1, vcc, v1, v4, vcc
	v_cmp_le_i64_e32 vcc, s[34:35], v[0:1]
	v_mov_b32_e32 v4, s17
	s_or_b64 s[2:3], vcc, s[2:3]
	v_add_co_u32_e32 v2, vcc, s16, v2
	v_addc_co_u32_e32 v3, vcc, v3, v4, vcc
	global_store_byte v[16:17], v13, off
	s_andn2_b64 exec, exec, s[2:3]
	s_cbranch_execz .LBB0_100
.LBB0_84:                               ; =>This Inner Loop Header: Depth=1
	v_add_co_u32_e32 v12, vcc, v2, v8
	v_addc_co_u32_e32 v13, vcc, v3, v9, vcc
	global_load_dword v4, v[12:13], off
	v_add_co_u32_e32 v12, vcc, v2, v6
	v_addc_co_u32_e32 v13, vcc, v3, v7, vcc
	global_load_dword v12, v[12:13], off
	v_mov_b32_e32 v19, v5
	s_waitcnt vmcnt(1)
	v_mul_f32_e32 v13, 0xbfb8aa3b, v4
	v_fma_f32 v16, v4, s18, -v13
	v_rndne_f32_e32 v17, v13
	v_fmac_f32_e32 v16, 0xb2a5705f, v4
	v_sub_f32_e32 v13, v13, v17
	v_add_f32_e32 v13, v13, v16
	v_cvt_i32_f32_e32 v17, v17
	v_exp_f32_e32 v13, v13
	v_cmp_nlt_f32_e32 vcc, s19, v4
	v_ldexp_f32 v13, v13, v17
	v_cndmask_b32_e32 v13, 0, v13, vcc
	v_cmp_ngt_f32_e32 vcc, s20, v4
	v_cndmask_b32_e32 v13, v11, v13, vcc
	v_add_f32_e32 v13, 1.0, v13
	v_div_scale_f32 v16, s[0:1], v13, v13, v4
	v_rcp_f32_e32 v17, v16
	v_div_scale_f32 v18, vcc, v4, v13, v4
	v_fma_f32 v20, -v16, v17, 1.0
	v_fmac_f32_e32 v17, v20, v17
	v_mul_f32_e32 v20, v18, v17
	v_fma_f32 v21, -v16, v20, v18
	v_fmac_f32_e32 v20, v21, v17
	v_fma_f32 v16, -v16, v20, v18
	v_div_fmas_f32 v16, v16, v17, v20
	v_div_fixup_f32 v4, v16, v13, v4
	s_waitcnt vmcnt(0)
	v_mul_f32_e32 v4, v12, v4
	v_mul_f32_e32 v4, v10, v4
	v_min_f32_e32 v4, 0x43e00000, v4
	v_max_f32_e32 v12, 0xc3e00000, v4
	v_and_b32_sdwa v16, v12, s21 dst_sel:DWORD dst_unused:UNUSED_PAD src0_sel:BYTE_3 src1_sel:DWORD
	v_and_b32_e32 v18, 0x7f800000, v12
	v_and_b32_e32 v4, 0x7fffff, v12
	v_or_b32_e32 v13, 0x7e, v16
	v_cmp_ne_u64_e32 vcc, s[4:5], v[18:19]
	s_and_saveexec_b64 s[0:1], vcc
	s_xor_b64 s[8:9], exec, s[0:1]
	s_cbranch_execz .LBB0_98
; %bb.85:                               ;   in Loop: Header=BB0_84 Depth=1
	v_and_b32_e32 v18, 0x7fffffff, v12
	v_mov_b32_e32 v19, v5
	v_cmp_gt_u64_e32 vcc, s[6:7], v[18:19]
	s_and_saveexec_b64 s[0:1], vcc
	s_xor_b64 s[10:11], exec, s[0:1]
	s_cbranch_execz .LBB0_97
; %bb.86:                               ;   in Loop: Header=BB0_84 Depth=1
	v_cmp_ne_u32_e32 vcc, 0, v12
	v_mov_b32_e32 v13, 0
	s_and_saveexec_b64 s[12:13], vcc
	s_cbranch_execz .LBB0_96
; %bb.87:                               ;   in Loop: Header=BB0_84 Depth=1
	v_bfe_u32 v12, v12, 23, 8
	v_sub_u32_e64 v13, s22, v12 clamp
	v_cmp_eq_u32_e32 vcc, 0, v12
	v_cndmask_b32_e32 v21, v13, v14, vcc
	v_add_u32_e32 v20, 0xffffff88, v12
	v_add_u32_e32 v12, 20, v21
	v_or_b32_e32 v17, 0x800000, v4
	v_lshlrev_b64 v[12:13], v12, -1
	v_cndmask_b32_e32 v4, v17, v4, vcc
	v_not_b32_e32 v13, v13
	v_not_b32_e32 v12, v12
	v_add_u32_e32 v17, 19, v21
	v_and_b32_e32 v13, 0, v13
	v_and_b32_e32 v12, v4, v12
	v_lshlrev_b64 v[18:19], v17, 1
	v_cmp_eq_u64_e64 s[0:1], v[12:13], v[18:19]
	v_lshrrev_b64 v[12:13], v21, v[4:5]
	v_cndmask_b32_e32 v4, v20, v15, vcc
	v_lshrrev_b32_e32 v17, 23, v12
	v_add3_u32 v17, v4, v21, v17
	v_and_b32_e32 v4, 0x100000, v12
	v_cmp_eq_u64_e32 vcc, 0, v[4:5]
	s_and_b64 vcc, vcc, s[0:1]
	v_subbrev_co_u32_e32 v4, vcc, 0, v12, vcc
	v_and_b32_e32 v4, 0xfffff, v4
	v_add_co_u32_e32 v12, vcc, v4, v12
	v_add_u32_e32 v18, -1, v17
	v_addc_co_u32_e32 v13, vcc, 0, v13, vcc
	v_cmp_ne_u32_e32 vcc, 0, v18
                                        ; implicit-def: $vgpr4
	s_and_saveexec_b64 s[0:1], vcc
	s_xor_b64 s[0:1], exec, s[0:1]
; %bb.88:                               ;   in Loop: Header=BB0_84 Depth=1
	v_and_b32_e32 v4, 0x1000000, v12
	v_cmp_eq_u64_e32 vcc, 0, v[4:5]
	v_cndmask_b32_e32 v4, v17, v18, vcc
	v_bfe_u32 v17, v12, 24, 1
	v_lshrrev_b64 v[12:13], v17, v[12:13]
; %bb.89:                               ;   in Loop: Header=BB0_84 Depth=1
	s_andn2_saveexec_b64 s[0:1], s[0:1]
; %bb.90:                               ;   in Loop: Header=BB0_84 Depth=1
	v_bfe_u32 v4, v12, 23, 1
; %bb.91:                               ;   in Loop: Header=BB0_84 Depth=1
	s_or_b64 exec, exec, s[0:1]
	v_lshrrev_b64 v[12:13], 20, v[12:13]
	v_cmp_gt_i32_e32 vcc, 16, v4
	v_cndmask_b32_e32 v13, 0, v13, vcc
	v_cndmask_b32_e32 v12, 7, v12, vcc
	v_cmp_ne_u32_e32 vcc, 0, v4
	v_cmp_ne_u64_e64 s[0:1], 0, v[12:13]
	s_or_b64 s[0:1], vcc, s[0:1]
                                        ; implicit-def: $vgpr13
	s_and_saveexec_b64 s[24:25], s[0:1]
	s_xor_b64 s[0:1], exec, s[24:25]
; %bb.92:                               ;   in Loop: Header=BB0_84 Depth=1
	v_min_i32_e32 v4, 15, v4
	v_lshl_or_b32 v4, v4, 3, v16
	v_and_or_b32 v13, v12, 7, v4
                                        ; implicit-def: $vgpr16
; %bb.93:                               ;   in Loop: Header=BB0_84 Depth=1
	s_andn2_saveexec_b64 s[0:1], s[0:1]
; %bb.94:                               ;   in Loop: Header=BB0_84 Depth=1
	v_mov_b32_e32 v13, v16
; %bb.95:                               ;   in Loop: Header=BB0_84 Depth=1
	s_or_b64 exec, exec, s[0:1]
.LBB0_96:                               ;   in Loop: Header=BB0_84 Depth=1
	s_or_b64 exec, exec, s[12:13]
.LBB0_97:                               ;   in Loop: Header=BB0_84 Depth=1
	s_andn2_saveexec_b64 s[0:1], s[10:11]
	s_or_b64 exec, exec, s[0:1]
                                        ; implicit-def: $vgpr12
.LBB0_98:                               ;   in Loop: Header=BB0_84 Depth=1
	s_andn2_saveexec_b64 s[0:1], s[8:9]
	s_cbranch_execz .LBB0_83
; %bb.99:                               ;   in Loop: Header=BB0_84 Depth=1
	v_or_b32_sdwa v12, v12, s23 dst_sel:DWORD dst_unused:UNUSED_PAD src0_sel:BYTE_3 src1_sel:DWORD
	v_cmp_eq_u64_e32 vcc, 0, v[4:5]
	v_cndmask_b32_e32 v13, v12, v13, vcc
	s_branch .LBB0_83
.LBB0_100:
	s_endpgm
	.section	.rodata,"a",@progbits
	.p2align	6, 0x0
	.amdhsa_kernel _ZN4vllm24act_and_mul_quant_kernelIfTnPFT_RKS1_EXadL_ZNS_11silu_kernelIfEES1_S3_EEN3c1013Float8_e4m3fnEEEvPT1_PS2_PKfi
		.amdhsa_group_segment_fixed_size 0
		.amdhsa_private_segment_fixed_size 0
		.amdhsa_kernarg_size 288
		.amdhsa_user_sgpr_count 6
		.amdhsa_user_sgpr_private_segment_buffer 1
		.amdhsa_user_sgpr_dispatch_ptr 0
		.amdhsa_user_sgpr_queue_ptr 0
		.amdhsa_user_sgpr_kernarg_segment_ptr 1
		.amdhsa_user_sgpr_dispatch_id 0
		.amdhsa_user_sgpr_flat_scratch_init 0
		.amdhsa_user_sgpr_kernarg_preload_length 0
		.amdhsa_user_sgpr_kernarg_preload_offset 0
		.amdhsa_user_sgpr_private_segment_size 0
		.amdhsa_uses_dynamic_stack 0
		.amdhsa_system_sgpr_private_segment_wavefront_offset 0
		.amdhsa_system_sgpr_workgroup_id_x 1
		.amdhsa_system_sgpr_workgroup_id_y 1
		.amdhsa_system_sgpr_workgroup_id_z 0
		.amdhsa_system_sgpr_workgroup_info 0
		.amdhsa_system_vgpr_workitem_id 0
		.amdhsa_next_free_vgpr 58
		.amdhsa_next_free_sgpr 63
		.amdhsa_accum_offset 60
		.amdhsa_reserve_vcc 1
		.amdhsa_reserve_flat_scratch 0
		.amdhsa_float_round_mode_32 0
		.amdhsa_float_round_mode_16_64 0
		.amdhsa_float_denorm_mode_32 3
		.amdhsa_float_denorm_mode_16_64 3
		.amdhsa_dx10_clamp 1
		.amdhsa_ieee_mode 1
		.amdhsa_fp16_overflow 0
		.amdhsa_tg_split 0
		.amdhsa_exception_fp_ieee_invalid_op 0
		.amdhsa_exception_fp_denorm_src 0
		.amdhsa_exception_fp_ieee_div_zero 0
		.amdhsa_exception_fp_ieee_overflow 0
		.amdhsa_exception_fp_ieee_underflow 0
		.amdhsa_exception_fp_ieee_inexact 0
		.amdhsa_exception_int_div_zero 0
	.end_amdhsa_kernel
	.section	.text._ZN4vllm24act_and_mul_quant_kernelIfTnPFT_RKS1_EXadL_ZNS_11silu_kernelIfEES1_S3_EEN3c1013Float8_e4m3fnEEEvPT1_PS2_PKfi,"axG",@progbits,_ZN4vllm24act_and_mul_quant_kernelIfTnPFT_RKS1_EXadL_ZNS_11silu_kernelIfEES1_S3_EEN3c1013Float8_e4m3fnEEEvPT1_PS2_PKfi,comdat
.Lfunc_end0:
	.size	_ZN4vllm24act_and_mul_quant_kernelIfTnPFT_RKS1_EXadL_ZNS_11silu_kernelIfEES1_S3_EEN3c1013Float8_e4m3fnEEEvPT1_PS2_PKfi, .Lfunc_end0-_ZN4vllm24act_and_mul_quant_kernelIfTnPFT_RKS1_EXadL_ZNS_11silu_kernelIfEES1_S3_EEN3c1013Float8_e4m3fnEEEvPT1_PS2_PKfi
                                        ; -- End function
	.section	.AMDGPU.csdata,"",@progbits
; Kernel info:
; codeLenInByte = 6684
; NumSgprs: 67
; NumVgprs: 58
; NumAgprs: 0
; TotalNumVgprs: 58
; ScratchSize: 0
; MemoryBound: 0
; FloatMode: 240
; IeeeMode: 1
; LDSByteSize: 0 bytes/workgroup (compile time only)
; SGPRBlocks: 8
; VGPRBlocks: 7
; NumSGPRsForWavesPerEU: 67
; NumVGPRsForWavesPerEU: 58
; AccumOffset: 60
; Occupancy: 8
; WaveLimiterHint : 0
; COMPUTE_PGM_RSRC2:SCRATCH_EN: 0
; COMPUTE_PGM_RSRC2:USER_SGPR: 6
; COMPUTE_PGM_RSRC2:TRAP_HANDLER: 0
; COMPUTE_PGM_RSRC2:TGID_X_EN: 1
; COMPUTE_PGM_RSRC2:TGID_Y_EN: 1
; COMPUTE_PGM_RSRC2:TGID_Z_EN: 0
; COMPUTE_PGM_RSRC2:TIDIG_COMP_CNT: 0
; COMPUTE_PGM_RSRC3_GFX90A:ACCUM_OFFSET: 14
; COMPUTE_PGM_RSRC3_GFX90A:TG_SPLIT: 0
	.section	.text._ZN4vllm24act_and_mul_quant_kernelIfTnPFT_RKS1_EXadL_ZNS_11silu_kernelIfEES1_S3_EEN3c1015Float8_e4m3fnuzEEEvPT1_PS2_PKfi,"axG",@progbits,_ZN4vllm24act_and_mul_quant_kernelIfTnPFT_RKS1_EXadL_ZNS_11silu_kernelIfEES1_S3_EEN3c1015Float8_e4m3fnuzEEEvPT1_PS2_PKfi,comdat
	.protected	_ZN4vllm24act_and_mul_quant_kernelIfTnPFT_RKS1_EXadL_ZNS_11silu_kernelIfEES1_S3_EEN3c1015Float8_e4m3fnuzEEEvPT1_PS2_PKfi ; -- Begin function _ZN4vllm24act_and_mul_quant_kernelIfTnPFT_RKS1_EXadL_ZNS_11silu_kernelIfEES1_S3_EEN3c1015Float8_e4m3fnuzEEEvPT1_PS2_PKfi
	.globl	_ZN4vllm24act_and_mul_quant_kernelIfTnPFT_RKS1_EXadL_ZNS_11silu_kernelIfEES1_S3_EEN3c1015Float8_e4m3fnuzEEEvPT1_PS2_PKfi
	.p2align	8
	.type	_ZN4vllm24act_and_mul_quant_kernelIfTnPFT_RKS1_EXadL_ZNS_11silu_kernelIfEES1_S3_EEN3c1015Float8_e4m3fnuzEEEvPT1_PS2_PKfi,@function
_ZN4vllm24act_and_mul_quant_kernelIfTnPFT_RKS1_EXadL_ZNS_11silu_kernelIfEES1_S3_EEN3c1015Float8_e4m3fnuzEEEvPT1_PS2_PKfi: ; @_ZN4vllm24act_and_mul_quant_kernelIfTnPFT_RKS1_EXadL_ZNS_11silu_kernelIfEES1_S3_EEN3c1015Float8_e4m3fnuzEEEvPT1_PS2_PKfi
; %bb.0:
	s_load_dword s1, s[4:5], 0x24
	s_load_dword s33, s[4:5], 0x18
	s_add_u32 s2, s4, 32
	s_mov_b32 s0, s7
	s_addc_u32 s3, s5, 0
	s_waitcnt lgkmcnt(0)
	s_abs_i32 s7, s1
	v_cvt_f32_u32_e32 v1, s7
	s_sub_i32 s9, 0, s7
	s_add_i32 s8, s33, s1
	s_add_i32 s8, s8, -1
	v_rcp_iflag_f32_e32 v1, v1
	s_xor_b32 s1, s8, s1
	s_abs_i32 s8, s8
	s_ashr_i32 s1, s1, 31
	v_mul_f32_e32 v1, 0x4f7ffffe, v1
	v_cvt_u32_f32_e32 v1, v1
	s_load_dwordx4 s[20:23], s[4:5], 0x0
	v_readfirstlane_b32 s10, v1
	s_mul_i32 s9, s9, s10
	s_mul_hi_u32 s9, s10, s9
	s_add_i32 s10, s10, s9
	s_mul_hi_u32 s9, s8, s10
	s_mul_i32 s10, s9, s7
	s_sub_i32 s8, s8, s10
	s_add_i32 s10, s9, 1
	s_sub_i32 s11, s8, s7
	s_cmp_ge_u32 s8, s7
	s_cselect_b32 s9, s10, s9
	s_cselect_b32 s8, s11, s8
	s_add_i32 s10, s9, 1
	s_cmp_ge_u32 s8, s7
	s_cselect_b32 s7, s10, s9
	s_xor_b32 s7, s7, s1
	s_sub_i32 s1, s7, s1
	s_and_b32 s7, s1, 3
	s_cmp_eq_u32 s7, 0
	s_mov_b32 s7, 0
	s_cbranch_scc1 .LBB1_2
; %bb.1:
	s_ashr_i32 s8, s1, 31
	s_lshr_b32 s8, s8, 30
	s_add_i32 s1, s1, s8
	s_and_b32 s1, s1, -4
	s_add_i32 s1, s1, 4
.LBB1_2:
	s_mul_i32 s8, s1, s0
	s_add_i32 s0, s8, s1
	s_min_i32 s24, s0, s33
	s_abs_i32 s9, s24
	v_cvt_f32_u32_e32 v1, s9
	s_load_dwordx2 s[0:1], s[4:5], 0x10
	s_ashr_i32 s36, s33, 31
	s_mul_hi_u32 s4, s33, s6
	v_rcp_iflag_f32_e32 v1, v1
	s_mul_i32 s5, s36, s6
	s_add_i32 s27, s4, s5
	s_sub_i32 s4, 0, s9
	v_mul_f32_e32 v1, 0x4f7ffffe, v1
	v_cvt_u32_f32_e32 v1, v1
	s_waitcnt lgkmcnt(0)
	s_load_dword s5, s[0:1], 0x0
	s_mul_i32 s26, s33, s6
	v_readfirstlane_b32 s0, v1
	s_mul_i32 s4, s4, s0
	s_mul_hi_u32 s1, s0, s4
	s_add_i32 s0, s0, s1
	s_lshr_b32 s0, s0, 30
	s_mul_i32 s0, s0, s9
	s_sub_i32 s0, 4, s0
	s_sub_i32 s1, s0, s9
	s_cmp_ge_u32 s0, s9
	s_cselect_b32 s0, s1, s0
	s_sub_i32 s1, s0, s9
	s_cmp_ge_u32 s0, s9
	s_cselect_b32 s25, s1, s0
	s_cmp_eq_u32 s25, 0
	s_cselect_b64 s[0:1], -1, 0
	v_cndmask_b32_e64 v11, 0, 1, s[0:1]
	s_waitcnt lgkmcnt(0)
	v_div_scale_f32 v1, s[0:1], s5, s5, 1.0
	v_rcp_f32_e32 v2, v1
	s_ashr_i32 s4, s8, 31
	s_lshr_b32 s0, s4, 30
	s_add_i32 s8, s8, s0
	v_fma_f32 v3, -v1, v2, 1.0
	v_fmac_f32_e32 v2, v3, v2
	v_div_scale_f32 v3, vcc, 1.0, s5, 1.0
	v_mul_f32_e32 v4, v3, v2
	v_fma_f32 v5, -v1, v4, v3
	v_fmac_f32_e32 v4, v5, v2
	s_ashr_i32 s0, s8, 2
	v_fma_f32 v1, -v1, v4, v3
	v_div_fmas_f32 v1, v1, v2, v4
	v_add_u32_e32 v13, s0, v0
	v_div_fixup_f32 v10, v1, s5, 1.0
	v_cmp_lt_i32_e32 vcc, v13, v11
	s_and_saveexec_b64 s[4:5], vcc
	s_cbranch_execz .LBB1_45
; %bb.3:
	s_load_dword s1, s[2:3], 0xc
	s_ashr_i32 s10, s0, 31
	v_add_co_u32_e32 v2, vcc, s0, v0
	v_mov_b32_e32 v1, s10
	s_waitcnt lgkmcnt(0)
	s_and_b32 s31, s1, 0xffff
	s_lshl_b64 s[0:1], s[6:7], 3
	s_or_b32 s0, s0, 4
	s_mul_i32 s10, s0, s36
	s_mul_hi_u32 s11, s0, s33
	v_addc_co_u32_e32 v3, vcc, 0, v1, vcc
	s_add_i32 s10, s11, s10
	s_mul_i32 s1, s1, s33
	s_lshl_b64 s[8:9], s[26:27], 3
	v_lshlrev_b64 v[4:5], 4, v[2:3]
	s_lshl_b32 s34, s31, 4
	s_add_i32 s1, s10, s1
	v_mov_b32_e32 v1, s23
	v_add_co_u32_e32 v12, vcc, s22, v4
	s_mul_i32 s35, s0, s33
	s_add_u32 s0, s20, s26
	v_addc_co_u32_e32 v1, vcc, v1, v5, vcc
	v_lshlrev_b64 v[2:3], 3, v[2:3]
	s_addc_u32 s10, s21, s27
	s_mov_b32 s30, 0
	v_mov_b32_e32 v4, s10
	v_add_co_u32_e32 v14, vcc, s0, v2
	v_addc_co_u32_e32 v15, vcc, v4, v3, vcc
	s_lshl_b32 s37, s31, 3
	s_mov_b32 s38, s30
	s_mov_b64 s[10:11], 0
	v_mov_b32_e32 v20, s9
	v_mov_b32_e32 v21, s1
	s_mov_b32 s9, 0xbfb8aa3b
	s_mov_b32 s39, 0x42ce8ed0
	;; [unrolled: 1-line block ×3, first 2 shown]
	v_mov_b32_e32 v22, 0x7f800000
	v_mov_b32_e32 v17, 0
	s_movk_i32 s41, 0x7f
	s_mov_b64 s[12:13], 0x7f800000
	s_mov_b64 s[14:15], 0x43700001
	s_movk_i32 s42, 0x78
	s_movk_i32 s43, 0x80
	s_mov_b32 s44, 0x4020c0c
	s_mov_b32 s45, 0xff00
	s_movk_i32 s46, 0xff
	v_mov_b32_e32 v23, 0x77
	v_mov_b32_e32 v24, 0xffffff8a
	s_branch .LBB1_8
.LBB1_4:                                ;   in Loop: Header=BB1_8 Depth=1
	s_or_b64 exec, exec, s[0:1]
	v_lshrrev_b64 v[4:5], 20, v[4:5]
	v_cmp_gt_i32_e32 vcc, 16, v7
	v_and_b32_sdwa v3, v3, s43 dst_sel:DWORD dst_unused:UNUSED_PAD src0_sel:BYTE_3 src1_sel:DWORD
	v_min_i32_e32 v8, 15, v7
	v_cndmask_b32_e32 v5, 0, v5, vcc
	v_cndmask_b32_e32 v4, 7, v4, vcc
	v_cmp_eq_u32_e32 vcc, 0, v7
	v_cmp_eq_u64_e64 s[0:1], 0, v[4:5]
	v_lshl_or_b32 v3, v8, 3, v3
	v_and_or_b32 v3, v4, 7, v3
	s_and_b64 s[0:1], vcc, s[0:1]
	v_cndmask_b32_e64 v4, v3, 0, s[0:1]
.LBB1_5:                                ;   in Loop: Header=BB1_8 Depth=1
	s_or_b64 exec, exec, s[28:29]
.LBB1_6:                                ;   in Loop: Header=BB1_8 Depth=1
	s_andn2_saveexec_b64 s[0:1], s[18:19]
	s_or_b64 exec, exec, s[0:1]
.LBB1_7:                                ;   in Loop: Header=BB1_8 Depth=1
	s_andn2_saveexec_b64 s[0:1], s[16:17]
	s_or_b64 exec, exec, s[0:1]
	v_lshlrev_b32_e32 v3, 16, v6
	v_perm_b32 v3, v4, v3, s44
	v_lshlrev_b32_e32 v2, 8, v2
	v_and_or_b32 v2, v2, s45, v3
	v_and_or_b32 v16, v18, s46, v2
	v_mov_b32_e32 v2, s30
	v_add_co_u32_e32 v12, vcc, s34, v12
	v_add_u32_e32 v13, s31, v13
	v_addc_co_u32_e32 v1, vcc, v1, v2, vcc
	v_cmp_ge_i32_e32 vcc, v13, v11
	global_store_dwordx2 v[14:15], v[16:17], off
	v_mov_b32_e32 v2, s38
	s_or_b64 s[10:11], vcc, s[10:11]
	v_add_co_u32_e32 v14, vcc, s37, v14
	v_addc_co_u32_e32 v15, vcc, v15, v2, vcc
	s_andn2_b64 exec, exec, s[10:11]
	s_cbranch_execz .LBB1_45
.LBB1_8:                                ; =>This Inner Loop Header: Depth=1
	v_add_co_u32_e32 v2, vcc, s8, v12
	v_addc_co_u32_e32 v3, vcc, v1, v20, vcc
	global_load_dwordx4 v[2:5], v[2:3], off
	v_add_co_u32_e32 v6, vcc, s35, v12
	v_addc_co_u32_e32 v7, vcc, v1, v21, vcc
	global_load_dwordx4 v[6:9], v[6:7], off
	s_waitcnt vmcnt(1)
	v_mul_f32_e32 v16, 0xbfb8aa3b, v2
	v_fma_f32 v18, v2, s9, -v16
	v_rndne_f32_e32 v19, v16
	v_fmac_f32_e32 v18, 0xb2a5705f, v2
	v_sub_f32_e32 v16, v16, v19
	v_add_f32_e32 v16, v16, v18
	v_cvt_i32_f32_e32 v19, v19
	v_exp_f32_e32 v16, v16
	v_cmp_nlt_f32_e32 vcc, s39, v2
	v_ldexp_f32 v16, v16, v19
	v_cndmask_b32_e32 v16, 0, v16, vcc
	v_cmp_ngt_f32_e32 vcc, s40, v2
	v_cndmask_b32_e32 v16, v22, v16, vcc
	v_add_f32_e32 v16, 1.0, v16
	v_div_scale_f32 v18, s[0:1], v16, v16, v2
	v_rcp_f32_e32 v19, v18
	v_div_scale_f32 v25, vcc, v2, v16, v2
	v_fma_f32 v26, -v18, v19, 1.0
	v_fmac_f32_e32 v19, v26, v19
	v_mul_f32_e32 v26, v25, v19
	v_fma_f32 v27, -v18, v26, v25
	v_fmac_f32_e32 v26, v27, v19
	v_fma_f32 v18, -v18, v26, v25
	v_div_fmas_f32 v18, v18, v19, v26
	v_div_fixup_f32 v2, v18, v16, v2
	s_waitcnt vmcnt(0)
	v_mul_f32_e32 v2, v6, v2
	v_mul_f32_e32 v2, v10, v2
	v_min_f32_e32 v2, 0x43600000, v2
	v_max_f32_e32 v2, 0xc3600000, v2
	v_and_b32_e32 v16, 0x7f800000, v2
	v_or_b32_sdwa v18, v2, s41 dst_sel:DWORD dst_unused:UNUSED_PAD src0_sel:BYTE_3 src1_sel:DWORD
	v_cmp_ne_u64_e32 vcc, s[12:13], v[16:17]
	s_and_saveexec_b64 s[0:1], vcc
	s_xor_b64 s[16:17], exec, s[0:1]
	s_cbranch_execz .LBB1_18
; %bb.9:                                ;   in Loop: Header=BB1_8 Depth=1
	v_and_b32_e32 v16, 0x7fffffff, v2
	v_cmp_gt_u64_e32 vcc, s[14:15], v[16:17]
	s_and_saveexec_b64 s[0:1], vcc
	s_xor_b64 s[18:19], exec, s[0:1]
	s_cbranch_execz .LBB1_17
; %bb.10:                               ;   in Loop: Header=BB1_8 Depth=1
	v_cmp_ne_u32_e32 vcc, 0, v2
	v_pk_mov_b32 v[18:19], 0, 0
	s_and_saveexec_b64 s[28:29], vcc
	s_cbranch_execz .LBB1_16
; %bb.11:                               ;   in Loop: Header=BB1_8 Depth=1
	v_bfe_u32 v16, v2, 23, 8
	v_and_b32_e32 v6, 0x7fffff, v2
	v_sub_u32_e64 v18, s42, v16 clamp
	v_cmp_eq_u32_e32 vcc, 0, v16
	v_or_b32_e32 v19, 0x800000, v6
	v_cndmask_b32_e32 v28, v18, v23, vcc
	v_add_u32_e32 v25, 0xffffff89, v16
	v_cndmask_b32_e32 v16, v19, v6, vcc
	v_add_u32_e32 v6, 20, v28
	v_lshlrev_b64 v[18:19], v6, -1
	v_not_b32_e32 v6, v18
	v_and_b32_e32 v18, v16, v6
	v_add_u32_e32 v6, 19, v28
	v_mov_b32_e32 v19, v17
	v_lshlrev_b64 v[26:27], v6, 1
	v_cmp_eq_u64_e64 s[0:1], v[18:19], v[26:27]
	v_lshrrev_b64 v[18:19], v28, v[16:17]
	v_cndmask_b32_e32 v6, v25, v24, vcc
	v_lshrrev_b32_e32 v16, 23, v18
	v_add3_u32 v25, v6, v28, v16
	v_and_b32_e32 v16, 0x100000, v18
	v_cmp_eq_u64_e32 vcc, 0, v[16:17]
	s_and_b64 vcc, vcc, s[0:1]
	v_subbrev_co_u32_e32 v6, vcc, 0, v18, vcc
	v_and_b32_e32 v6, 0xfffff, v6
	v_add_co_u32_e32 v18, vcc, v6, v18
	v_add_u32_e32 v26, -1, v25
	v_addc_co_u32_e32 v19, vcc, 0, v19, vcc
	v_cmp_ne_u32_e32 vcc, 0, v26
                                        ; implicit-def: $vgpr6
	s_and_saveexec_b64 s[0:1], vcc
	s_xor_b64 s[0:1], exec, s[0:1]
; %bb.12:                               ;   in Loop: Header=BB1_8 Depth=1
	v_and_b32_e32 v16, 0x1000000, v18
	v_cmp_eq_u64_e32 vcc, 0, v[16:17]
	v_bfe_u32 v16, v18, 24, 1
	v_cndmask_b32_e32 v6, v25, v26, vcc
	v_lshrrev_b64 v[18:19], v16, v[18:19]
; %bb.13:                               ;   in Loop: Header=BB1_8 Depth=1
	s_andn2_saveexec_b64 s[0:1], s[0:1]
; %bb.14:                               ;   in Loop: Header=BB1_8 Depth=1
	v_bfe_u32 v6, v18, 23, 1
; %bb.15:                               ;   in Loop: Header=BB1_8 Depth=1
	s_or_b64 exec, exec, s[0:1]
	v_lshrrev_b64 v[18:19], 20, v[18:19]
	v_cmp_gt_i32_e32 vcc, 16, v6
	v_and_b32_sdwa v2, v2, s43 dst_sel:DWORD dst_unused:UNUSED_PAD src0_sel:BYTE_3 src1_sel:DWORD
	v_min_i32_e32 v16, 15, v6
	v_cndmask_b32_e32 v19, 0, v19, vcc
	v_cndmask_b32_e32 v18, 7, v18, vcc
	v_cmp_eq_u32_e32 vcc, 0, v6
	v_cmp_eq_u64_e64 s[0:1], 0, v[18:19]
	v_lshl_or_b32 v2, v16, 3, v2
	v_and_or_b32 v2, v18, 7, v2
	s_and_b64 s[0:1], vcc, s[0:1]
	v_cndmask_b32_e64 v18, v2, 0, s[0:1]
.LBB1_16:                               ;   in Loop: Header=BB1_8 Depth=1
	s_or_b64 exec, exec, s[28:29]
.LBB1_17:                               ;   in Loop: Header=BB1_8 Depth=1
	s_andn2_saveexec_b64 s[0:1], s[18:19]
	s_or_b64 exec, exec, s[0:1]
.LBB1_18:                               ;   in Loop: Header=BB1_8 Depth=1
	s_andn2_saveexec_b64 s[0:1], s[16:17]
	s_or_b64 exec, exec, s[0:1]
	v_mul_f32_e32 v2, 0xbfb8aa3b, v3
	v_rndne_f32_e32 v6, v2
	v_sub_f32_e32 v16, v2, v6
	v_fma_f32 v2, v3, s9, -v2
	v_fmac_f32_e32 v2, 0xb2a5705f, v3
	v_add_f32_e32 v2, v16, v2
	v_cvt_i32_f32_e32 v6, v6
	v_exp_f32_e32 v2, v2
	v_cmp_nlt_f32_e32 vcc, s39, v3
	v_ldexp_f32 v2, v2, v6
	v_cndmask_b32_e32 v2, 0, v2, vcc
	v_cmp_ngt_f32_e32 vcc, s40, v3
	v_cndmask_b32_e32 v2, v22, v2, vcc
	v_add_f32_e32 v2, 1.0, v2
	v_div_scale_f32 v6, s[0:1], v2, v2, v3
	v_rcp_f32_e32 v16, v6
	v_fma_f32 v19, -v6, v16, 1.0
	v_fmac_f32_e32 v16, v19, v16
	v_div_scale_f32 v19, vcc, v3, v2, v3
	v_mul_f32_e32 v25, v19, v16
	v_fma_f32 v26, -v6, v25, v19
	v_fmac_f32_e32 v25, v26, v16
	v_fma_f32 v6, -v6, v25, v19
	v_div_fmas_f32 v6, v6, v16, v25
	v_div_fixup_f32 v2, v6, v2, v3
	v_mul_f32_e32 v2, v7, v2
	v_mul_f32_e32 v2, v10, v2
	v_min_f32_e32 v2, 0x43600000, v2
	v_max_f32_e32 v6, 0xc3600000, v2
	v_and_b32_e32 v16, 0x7f800000, v6
	v_or_b32_sdwa v2, v6, s41 dst_sel:DWORD dst_unused:UNUSED_PAD src0_sel:BYTE_3 src1_sel:DWORD
	v_cmp_ne_u64_e32 vcc, s[12:13], v[16:17]
	s_and_saveexec_b64 s[0:1], vcc
	s_xor_b64 s[16:17], exec, s[0:1]
	s_cbranch_execz .LBB1_28
; %bb.19:                               ;   in Loop: Header=BB1_8 Depth=1
	v_and_b32_e32 v16, 0x7fffffff, v6
	v_cmp_gt_u64_e32 vcc, s[14:15], v[16:17]
	s_and_saveexec_b64 s[0:1], vcc
	s_xor_b64 s[18:19], exec, s[0:1]
	s_cbranch_execz .LBB1_27
; %bb.20:                               ;   in Loop: Header=BB1_8 Depth=1
	v_cmp_ne_u32_e32 vcc, 0, v6
	v_pk_mov_b32 v[2:3], 0, 0
	s_and_saveexec_b64 s[28:29], vcc
	s_cbranch_execz .LBB1_26
; %bb.21:                               ;   in Loop: Header=BB1_8 Depth=1
	v_bfe_u32 v3, v6, 23, 8
	v_and_b32_e32 v2, 0x7fffff, v6
	v_sub_u32_e64 v7, s42, v3 clamp
	v_cmp_eq_u32_e32 vcc, 0, v3
	v_or_b32_e32 v16, 0x800000, v2
	v_cndmask_b32_e32 v7, v7, v23, vcc
	v_cndmask_b32_e32 v16, v16, v2, vcc
	v_add_u32_e32 v2, 20, v7
	v_add_u32_e32 v19, 0xffffff89, v3
	v_lshlrev_b64 v[2:3], v2, -1
	v_not_b32_e32 v2, v2
	v_add_u32_e32 v25, 19, v7
	v_and_b32_e32 v2, v16, v2
	v_mov_b32_e32 v3, v17
	v_lshlrev_b64 v[26:27], v25, 1
	v_cmp_eq_u64_e64 s[0:1], v[2:3], v[26:27]
	v_lshrrev_b64 v[2:3], v7, v[16:17]
	v_cndmask_b32_e32 v16, v19, v24, vcc
	v_lshrrev_b32_e32 v19, 23, v2
	v_add3_u32 v19, v16, v7, v19
	v_and_b32_e32 v16, 0x100000, v2
	v_cmp_eq_u64_e32 vcc, 0, v[16:17]
	s_and_b64 vcc, vcc, s[0:1]
	v_subbrev_co_u32_e32 v7, vcc, 0, v2, vcc
	v_and_b32_e32 v7, 0xfffff, v7
	v_add_co_u32_e32 v2, vcc, v7, v2
	v_add_u32_e32 v25, -1, v19
	v_addc_co_u32_e32 v3, vcc, 0, v3, vcc
	v_cmp_ne_u32_e32 vcc, 0, v25
                                        ; implicit-def: $vgpr7
	s_and_saveexec_b64 s[0:1], vcc
	s_xor_b64 s[0:1], exec, s[0:1]
; %bb.22:                               ;   in Loop: Header=BB1_8 Depth=1
	v_and_b32_e32 v16, 0x1000000, v2
	v_cmp_eq_u64_e32 vcc, 0, v[16:17]
	v_bfe_u32 v16, v2, 24, 1
	v_cndmask_b32_e32 v7, v19, v25, vcc
	v_lshrrev_b64 v[2:3], v16, v[2:3]
; %bb.23:                               ;   in Loop: Header=BB1_8 Depth=1
	s_andn2_saveexec_b64 s[0:1], s[0:1]
; %bb.24:                               ;   in Loop: Header=BB1_8 Depth=1
	v_bfe_u32 v7, v2, 23, 1
; %bb.25:                               ;   in Loop: Header=BB1_8 Depth=1
	s_or_b64 exec, exec, s[0:1]
	v_lshrrev_b64 v[2:3], 20, v[2:3]
	v_cmp_gt_i32_e32 vcc, 16, v7
	v_and_b32_sdwa v6, v6, s43 dst_sel:DWORD dst_unused:UNUSED_PAD src0_sel:BYTE_3 src1_sel:DWORD
	v_min_i32_e32 v16, 15, v7
	v_cndmask_b32_e32 v3, 0, v3, vcc
	v_cndmask_b32_e32 v2, 7, v2, vcc
	v_cmp_eq_u32_e32 vcc, 0, v7
	v_cmp_eq_u64_e64 s[0:1], 0, v[2:3]
	v_lshl_or_b32 v3, v16, 3, v6
	v_and_or_b32 v2, v2, 7, v3
	s_and_b64 s[0:1], vcc, s[0:1]
	v_cndmask_b32_e64 v2, v2, 0, s[0:1]
.LBB1_26:                               ;   in Loop: Header=BB1_8 Depth=1
	s_or_b64 exec, exec, s[28:29]
.LBB1_27:                               ;   in Loop: Header=BB1_8 Depth=1
	s_andn2_saveexec_b64 s[0:1], s[18:19]
	s_or_b64 exec, exec, s[0:1]
.LBB1_28:                               ;   in Loop: Header=BB1_8 Depth=1
	s_andn2_saveexec_b64 s[0:1], s[16:17]
	s_or_b64 exec, exec, s[0:1]
	v_mul_f32_e32 v3, 0xbfb8aa3b, v4
	v_rndne_f32_e32 v6, v3
	v_sub_f32_e32 v7, v3, v6
	v_fma_f32 v3, v4, s9, -v3
	v_fmac_f32_e32 v3, 0xb2a5705f, v4
	v_add_f32_e32 v3, v7, v3
	v_cvt_i32_f32_e32 v6, v6
	v_exp_f32_e32 v3, v3
	v_cmp_nlt_f32_e32 vcc, s39, v4
	v_ldexp_f32 v3, v3, v6
	v_cndmask_b32_e32 v3, 0, v3, vcc
	v_cmp_ngt_f32_e32 vcc, s40, v4
	v_cndmask_b32_e32 v3, v22, v3, vcc
	v_add_f32_e32 v3, 1.0, v3
	v_div_scale_f32 v6, s[0:1], v3, v3, v4
	v_rcp_f32_e32 v7, v6
	v_fma_f32 v16, -v6, v7, 1.0
	v_fmac_f32_e32 v7, v16, v7
	v_div_scale_f32 v16, vcc, v4, v3, v4
	v_mul_f32_e32 v19, v16, v7
	v_fma_f32 v25, -v6, v19, v16
	v_fmac_f32_e32 v19, v25, v7
	v_fma_f32 v6, -v6, v19, v16
	v_div_fmas_f32 v6, v6, v7, v19
	v_div_fixup_f32 v3, v6, v3, v4
	v_mul_f32_e32 v3, v8, v3
	v_mul_f32_e32 v3, v10, v3
	v_min_f32_e32 v3, 0x43600000, v3
	v_max_f32_e32 v3, 0xc3600000, v3
	v_and_b32_e32 v16, 0x7f800000, v3
	v_or_b32_sdwa v6, v3, s41 dst_sel:DWORD dst_unused:UNUSED_PAD src0_sel:BYTE_3 src1_sel:DWORD
	v_cmp_ne_u64_e32 vcc, s[12:13], v[16:17]
	s_and_saveexec_b64 s[0:1], vcc
	s_xor_b64 s[16:17], exec, s[0:1]
	s_cbranch_execz .LBB1_38
; %bb.29:                               ;   in Loop: Header=BB1_8 Depth=1
	v_and_b32_e32 v16, 0x7fffffff, v3
	v_cmp_gt_u64_e32 vcc, s[14:15], v[16:17]
	s_and_saveexec_b64 s[0:1], vcc
	s_xor_b64 s[18:19], exec, s[0:1]
	s_cbranch_execz .LBB1_37
; %bb.30:                               ;   in Loop: Header=BB1_8 Depth=1
	v_cmp_ne_u32_e32 vcc, 0, v3
	v_pk_mov_b32 v[6:7], 0, 0
	s_and_saveexec_b64 s[28:29], vcc
	s_cbranch_execz .LBB1_36
; %bb.31:                               ;   in Loop: Header=BB1_8 Depth=1
	v_bfe_u32 v6, v3, 23, 8
	v_and_b32_e32 v4, 0x7fffff, v3
	v_sub_u32_e64 v7, s42, v6 clamp
	v_cmp_eq_u32_e32 vcc, 0, v6
	v_or_b32_e32 v8, 0x800000, v4
	v_cndmask_b32_e32 v25, v7, v23, vcc
	v_cndmask_b32_e32 v16, v8, v4, vcc
	v_add_u32_e32 v4, 20, v25
	v_add_u32_e32 v19, 0xffffff89, v6
	v_lshlrev_b64 v[6:7], v4, -1
	v_not_b32_e32 v4, v6
	v_and_b32_e32 v6, v16, v4
	v_add_u32_e32 v4, 19, v25
	v_mov_b32_e32 v7, v17
	v_lshlrev_b64 v[26:27], v4, 1
	v_cmp_eq_u64_e64 s[0:1], v[6:7], v[26:27]
	v_lshrrev_b64 v[6:7], v25, v[16:17]
	v_and_b32_e32 v16, 0x100000, v6
	v_cndmask_b32_e32 v4, v19, v24, vcc
	v_cmp_eq_u64_e32 vcc, 0, v[16:17]
	v_lshrrev_b32_e32 v8, 23, v6
	s_and_b64 vcc, vcc, s[0:1]
	v_add3_u32 v8, v4, v25, v8
	v_subbrev_co_u32_e32 v4, vcc, 0, v6, vcc
	v_and_b32_e32 v4, 0xfffff, v4
	v_add_co_u32_e32 v6, vcc, v4, v6
	v_add_u32_e32 v19, -1, v8
	v_addc_co_u32_e32 v7, vcc, 0, v7, vcc
	v_cmp_ne_u32_e32 vcc, 0, v19
                                        ; implicit-def: $vgpr4
	s_and_saveexec_b64 s[0:1], vcc
	s_xor_b64 s[0:1], exec, s[0:1]
; %bb.32:                               ;   in Loop: Header=BB1_8 Depth=1
	v_and_b32_e32 v16, 0x1000000, v6
	v_cmp_eq_u64_e32 vcc, 0, v[16:17]
	v_cndmask_b32_e32 v4, v8, v19, vcc
	v_bfe_u32 v8, v6, 24, 1
	v_lshrrev_b64 v[6:7], v8, v[6:7]
; %bb.33:                               ;   in Loop: Header=BB1_8 Depth=1
	s_andn2_saveexec_b64 s[0:1], s[0:1]
; %bb.34:                               ;   in Loop: Header=BB1_8 Depth=1
	v_bfe_u32 v4, v6, 23, 1
; %bb.35:                               ;   in Loop: Header=BB1_8 Depth=1
	s_or_b64 exec, exec, s[0:1]
	v_lshrrev_b64 v[6:7], 20, v[6:7]
	v_cmp_gt_i32_e32 vcc, 16, v4
	v_and_b32_sdwa v3, v3, s43 dst_sel:DWORD dst_unused:UNUSED_PAD src0_sel:BYTE_3 src1_sel:DWORD
	v_min_i32_e32 v8, 15, v4
	v_cndmask_b32_e32 v7, 0, v7, vcc
	v_cndmask_b32_e32 v6, 7, v6, vcc
	v_cmp_eq_u32_e32 vcc, 0, v4
	v_cmp_eq_u64_e64 s[0:1], 0, v[6:7]
	v_lshl_or_b32 v3, v8, 3, v3
	v_and_or_b32 v3, v6, 7, v3
	s_and_b64 s[0:1], vcc, s[0:1]
	v_cndmask_b32_e64 v6, v3, 0, s[0:1]
.LBB1_36:                               ;   in Loop: Header=BB1_8 Depth=1
	s_or_b64 exec, exec, s[28:29]
.LBB1_37:                               ;   in Loop: Header=BB1_8 Depth=1
	s_andn2_saveexec_b64 s[0:1], s[18:19]
	s_or_b64 exec, exec, s[0:1]
.LBB1_38:                               ;   in Loop: Header=BB1_8 Depth=1
	s_andn2_saveexec_b64 s[0:1], s[16:17]
	s_or_b64 exec, exec, s[0:1]
	v_mul_f32_e32 v3, 0xbfb8aa3b, v5
	v_rndne_f32_e32 v4, v3
	v_sub_f32_e32 v7, v3, v4
	v_fma_f32 v3, v5, s9, -v3
	v_fmac_f32_e32 v3, 0xb2a5705f, v5
	v_add_f32_e32 v3, v7, v3
	v_cvt_i32_f32_e32 v4, v4
	v_exp_f32_e32 v3, v3
	v_cmp_nlt_f32_e32 vcc, s39, v5
	v_ldexp_f32 v3, v3, v4
	v_cndmask_b32_e32 v3, 0, v3, vcc
	v_cmp_ngt_f32_e32 vcc, s40, v5
	v_cndmask_b32_e32 v3, v22, v3, vcc
	v_add_f32_e32 v3, 1.0, v3
	v_div_scale_f32 v4, s[0:1], v3, v3, v5
	v_rcp_f32_e32 v7, v4
	v_fma_f32 v8, -v4, v7, 1.0
	v_fmac_f32_e32 v7, v8, v7
	v_div_scale_f32 v8, vcc, v5, v3, v5
	v_mul_f32_e32 v16, v8, v7
	v_fma_f32 v19, -v4, v16, v8
	v_fmac_f32_e32 v16, v19, v7
	v_fma_f32 v4, -v4, v16, v8
	v_div_fmas_f32 v4, v4, v7, v16
	v_div_fixup_f32 v3, v4, v3, v5
	v_mul_f32_e32 v3, v9, v3
	v_mul_f32_e32 v3, v10, v3
	v_min_f32_e32 v3, 0x43600000, v3
	v_max_f32_e32 v3, 0xc3600000, v3
	v_and_b32_e32 v16, 0x7f800000, v3
	v_or_b32_sdwa v4, v3, s41 dst_sel:DWORD dst_unused:UNUSED_PAD src0_sel:BYTE_3 src1_sel:DWORD
	v_cmp_ne_u64_e32 vcc, s[12:13], v[16:17]
	s_and_saveexec_b64 s[0:1], vcc
	s_xor_b64 s[16:17], exec, s[0:1]
	s_cbranch_execz .LBB1_7
; %bb.39:                               ;   in Loop: Header=BB1_8 Depth=1
	v_and_b32_e32 v16, 0x7fffffff, v3
	v_cmp_gt_u64_e32 vcc, s[14:15], v[16:17]
	s_and_saveexec_b64 s[0:1], vcc
	s_xor_b64 s[18:19], exec, s[0:1]
	s_cbranch_execz .LBB1_6
; %bb.40:                               ;   in Loop: Header=BB1_8 Depth=1
	v_cmp_ne_u32_e32 vcc, 0, v3
	v_pk_mov_b32 v[4:5], 0, 0
	s_and_saveexec_b64 s[28:29], vcc
	s_cbranch_execz .LBB1_5
; %bb.41:                               ;   in Loop: Header=BB1_8 Depth=1
	v_bfe_u32 v5, v3, 23, 8
	v_and_b32_e32 v4, 0x7fffff, v3
	v_sub_u32_e64 v7, s42, v5 clamp
	v_cmp_eq_u32_e32 vcc, 0, v5
	v_or_b32_e32 v8, 0x800000, v4
	v_cndmask_b32_e32 v7, v7, v23, vcc
	v_cndmask_b32_e32 v16, v8, v4, vcc
	v_add_u32_e32 v4, 20, v7
	v_add_u32_e32 v19, 0xffffff89, v5
	v_lshlrev_b64 v[4:5], v4, -1
	v_not_b32_e32 v4, v4
	v_add_u32_e32 v8, 19, v7
	v_and_b32_e32 v4, v16, v4
	v_mov_b32_e32 v5, v17
	v_lshlrev_b64 v[8:9], v8, 1
	v_cmp_eq_u64_e64 s[0:1], v[4:5], v[8:9]
	v_lshrrev_b64 v[4:5], v7, v[16:17]
	v_and_b32_e32 v16, 0x100000, v4
	v_cndmask_b32_e32 v8, v19, v24, vcc
	v_cmp_eq_u64_e32 vcc, 0, v[16:17]
	v_lshrrev_b32_e32 v9, 23, v4
	s_and_b64 vcc, vcc, s[0:1]
	v_add3_u32 v8, v8, v7, v9
	v_subbrev_co_u32_e32 v7, vcc, 0, v4, vcc
	v_and_b32_e32 v7, 0xfffff, v7
	v_add_co_u32_e32 v4, vcc, v7, v4
	v_add_u32_e32 v9, -1, v8
	v_addc_co_u32_e32 v5, vcc, 0, v5, vcc
	v_cmp_ne_u32_e32 vcc, 0, v9
                                        ; implicit-def: $vgpr7
	s_and_saveexec_b64 s[0:1], vcc
	s_xor_b64 s[0:1], exec, s[0:1]
; %bb.42:                               ;   in Loop: Header=BB1_8 Depth=1
	v_and_b32_e32 v16, 0x1000000, v4
	v_cmp_eq_u64_e32 vcc, 0, v[16:17]
	v_cndmask_b32_e32 v7, v8, v9, vcc
	v_bfe_u32 v8, v4, 24, 1
	v_lshrrev_b64 v[4:5], v8, v[4:5]
; %bb.43:                               ;   in Loop: Header=BB1_8 Depth=1
	s_andn2_saveexec_b64 s[0:1], s[0:1]
	s_cbranch_execz .LBB1_4
; %bb.44:                               ;   in Loop: Header=BB1_8 Depth=1
	v_bfe_u32 v7, v4, 23, 1
	s_branch .LBB1_4
.LBB1_45:
	s_or_b64 exec, exec, s[4:5]
	s_sub_i32 s0, 4, s25
	s_cmp_gt_i32 s24, s0
	s_cbranch_scc0 .LBB1_70
; %bb.46:
	v_add_u32_e32 v0, s0, v0
	v_cmp_gt_i32_e32 vcc, s24, v0
	s_and_saveexec_b64 s[0:1], vcc
	s_cbranch_execz .LBB1_70
; %bb.47:
	s_load_dword s2, s[2:3], 0xc
	s_ashr_i32 s25, s24, 31
	v_mov_b32_e32 v2, s25
	v_mov_b32_e32 v1, 0
	s_mov_b32 s44, 0
	s_waitcnt lgkmcnt(0)
	s_and_b32 s45, s2, 0xffff
	v_add_co_u32_e32 v4, vcc, s45, v0
	v_addc_co_u32_e64 v5, s[0:1], 0, 0, vcc
	v_cmp_gt_i64_e32 vcc, s[24:25], v[4:5]
	v_cndmask_b32_e32 v6, v5, v2, vcc
	v_mov_b32_e32 v2, s24
	v_cndmask_b32_e32 v3, v4, v2, vcc
	v_cndmask_b32_e64 v2, 0, 1, vcc
	v_add_co_u32_e32 v4, vcc, v4, v2
	v_addc_co_u32_e32 v5, vcc, 0, v5, vcc
	v_sub_co_u32_e32 v3, vcc, v3, v4
	v_cmp_gt_u16_e64 s[0:1], s2, 1
	v_subb_co_u32_e32 v5, vcc, v6, v5, vcc
	s_and_b64 s[0:1], s[0:1], exec
	v_mov_b32_e32 v4, v1
	s_cselect_b32 s0, 0, 0
	s_cselect_b32 s4, s45, 1
	v_cmp_ne_u64_e32 vcc, 0, v[4:5]
                                        ; implicit-def: $vgpr6_vgpr7
	s_and_saveexec_b64 s[2:3], vcc
	s_xor_b64 s[2:3], exec, s[2:3]
	s_cbranch_execz .LBB1_49
; %bb.48:
	v_cvt_f32_u32_e32 v4, s4
	v_mov_b32_e32 v6, 0x4f800000
	s_sub_u32 s1, 0, s4
	s_subb_u32 s0, 0, s0
	v_mac_f32_e32 v4, 0, v6
	v_rcp_f32_e32 v4, v4
	v_mul_f32_e32 v4, 0x5f7ffffc, v4
	v_mul_f32_e32 v6, 0x2f800000, v4
	v_trunc_f32_e32 v6, v6
	v_madmk_f32 v4, v6, 0xcf800000, v4
	v_cvt_u32_f32_e32 v6, v6
	v_cvt_u32_f32_e32 v4, v4
	v_mul_lo_u32 v7, s1, v6
	v_mul_hi_u32 v9, s1, v4
	v_mul_lo_u32 v8, s0, v4
	v_add_u32_e32 v7, v9, v7
	v_mul_lo_u32 v11, s1, v4
	v_add_u32_e32 v7, v7, v8
	v_mul_hi_u32 v9, v4, v11
	v_mul_lo_u32 v12, v4, v7
	v_mul_hi_u32 v8, v4, v7
	v_add_co_u32_e32 v9, vcc, v9, v12
	v_addc_co_u32_e32 v8, vcc, 0, v8, vcc
	v_mul_hi_u32 v13, v6, v11
	v_mul_lo_u32 v11, v6, v11
	v_add_co_u32_e32 v9, vcc, v9, v11
	v_mul_hi_u32 v12, v6, v7
	v_addc_co_u32_e32 v8, vcc, v8, v13, vcc
	v_addc_co_u32_e32 v9, vcc, 0, v12, vcc
	v_mul_lo_u32 v7, v6, v7
	v_add_co_u32_e32 v7, vcc, v8, v7
	v_addc_co_u32_e32 v8, vcc, 0, v9, vcc
	v_add_co_u32_e32 v4, vcc, v4, v7
	v_addc_co_u32_e32 v6, vcc, v6, v8, vcc
	v_mul_lo_u32 v7, s1, v6
	v_mul_hi_u32 v8, s1, v4
	v_add_u32_e32 v7, v8, v7
	v_mul_lo_u32 v8, s0, v4
	v_add_u32_e32 v7, v7, v8
	v_mul_lo_u32 v9, s1, v4
	v_mul_hi_u32 v11, v6, v9
	v_mul_lo_u32 v12, v6, v9
	v_mul_lo_u32 v14, v4, v7
	v_mul_hi_u32 v9, v4, v9
	v_mul_hi_u32 v13, v4, v7
	v_add_co_u32_e32 v9, vcc, v9, v14
	v_addc_co_u32_e32 v13, vcc, 0, v13, vcc
	v_add_co_u32_e32 v9, vcc, v9, v12
	v_mul_hi_u32 v8, v6, v7
	v_addc_co_u32_e32 v9, vcc, v13, v11, vcc
	v_addc_co_u32_e32 v8, vcc, 0, v8, vcc
	v_mul_lo_u32 v7, v6, v7
	v_add_co_u32_e32 v7, vcc, v9, v7
	v_addc_co_u32_e32 v8, vcc, 0, v8, vcc
	v_add_co_u32_e32 v4, vcc, v4, v7
	v_addc_co_u32_e32 v8, vcc, v6, v8, vcc
	v_mad_u64_u32 v[6:7], s[0:1], v3, v8, 0
	v_mul_hi_u32 v9, v3, v4
	v_add_co_u32_e32 v11, vcc, v9, v6
	v_addc_co_u32_e32 v12, vcc, 0, v7, vcc
	v_mad_u64_u32 v[6:7], s[0:1], v5, v8, 0
	v_mad_u64_u32 v[8:9], s[0:1], v5, v4, 0
	v_add_co_u32_e32 v4, vcc, v11, v8
	v_addc_co_u32_e32 v4, vcc, v12, v9, vcc
	v_addc_co_u32_e32 v7, vcc, 0, v7, vcc
	v_add_co_u32_e32 v11, vcc, v4, v6
	v_addc_co_u32_e32 v12, vcc, 0, v7, vcc
	v_mad_u64_u32 v[6:7], s[0:1], s4, v11, 0
	v_mov_b32_e32 v4, v7
	v_mad_u64_u32 v[8:9], s[0:1], s4, v12, v[4:5]
	v_sub_co_u32_e32 v3, vcc, v3, v6
	v_subb_co_u32_e32 v4, vcc, v5, v8, vcc
	v_subrev_co_u32_e32 v5, vcc, s4, v3
	v_subbrev_co_u32_e32 v6, vcc, 0, v4, vcc
	v_cmp_le_u32_e32 vcc, s4, v5
	v_cndmask_b32_e64 v5, 0, -1, vcc
	v_cmp_eq_u32_e32 vcc, 0, v6
	v_cndmask_b32_e32 v5, -1, v5, vcc
	v_add_co_u32_e32 v6, vcc, 2, v11
	v_addc_co_u32_e32 v7, vcc, 0, v12, vcc
	v_add_co_u32_e32 v8, vcc, 1, v11
	v_cmp_le_u32_e64 s[0:1], s4, v3
	v_addc_co_u32_e32 v9, vcc, 0, v12, vcc
	v_cndmask_b32_e64 v3, 0, -1, s[0:1]
	v_cmp_eq_u32_e64 s[0:1], 0, v4
	v_cmp_ne_u32_e32 vcc, 0, v5
	v_cndmask_b32_e64 v3, -1, v3, s[0:1]
	v_cndmask_b32_e32 v5, v9, v7, vcc
	v_cmp_ne_u32_e64 s[0:1], 0, v3
	v_cndmask_b32_e32 v3, v8, v6, vcc
	v_cndmask_b32_e64 v7, v12, v5, s[0:1]
	v_cndmask_b32_e64 v6, v11, v3, s[0:1]
                                        ; implicit-def: $vgpr3
.LBB1_49:
	s_andn2_saveexec_b64 s[0:1], s[2:3]
	s_cbranch_execz .LBB1_51
; %bb.50:
	v_cvt_f32_u32_e32 v4, s4
	s_sub_i32 s2, 0, s4
	v_mov_b32_e32 v7, 0
	v_rcp_iflag_f32_e32 v4, v4
	v_mul_f32_e32 v4, 0x4f7ffffe, v4
	v_cvt_u32_f32_e32 v4, v4
	v_mul_lo_u32 v5, s2, v4
	v_mul_hi_u32 v5, v4, v5
	v_add_u32_e32 v4, v4, v5
	v_mul_hi_u32 v4, v3, v4
	v_mul_lo_u32 v5, v4, s4
	v_sub_u32_e32 v3, v3, v5
	v_add_u32_e32 v6, 1, v4
	v_subrev_u32_e32 v5, s4, v3
	v_cmp_le_u32_e32 vcc, s4, v3
	v_cndmask_b32_e32 v3, v3, v5, vcc
	v_cndmask_b32_e32 v4, v4, v6, vcc
	v_add_u32_e32 v5, 1, v4
	v_cmp_le_u32_e32 vcc, s4, v3
	v_cndmask_b32_e32 v6, v4, v5, vcc
.LBB1_51:
	s_or_b64 exec, exec, s[0:1]
	v_add_co_u32_e32 v2, vcc, v6, v2
	v_addc_co_u32_e32 v3, vcc, 0, v7, vcc
	v_add_co_u32_e32 v2, vcc, 1, v2
	v_addc_co_u32_e32 v3, vcc, 0, v3, vcc
	v_cmp_gt_u64_e32 vcc, 2, v[2:3]
	v_cmp_ne_u16_e64 s[0:1], s45, 1
                                        ; kill: def $vgpr4_vgpr5 killed $sgpr0_sgpr1 killed $exec
	s_or_b64 s[4:5], vcc, s[0:1]
	s_mov_b64 s[28:29], 0
	v_mov_b32_e32 v5, v3
                                        ; implicit-def: $sgpr2_sgpr3
                                        ; implicit-def: $sgpr0_sgpr1
	s_and_saveexec_b64 s[8:9], s[4:5]
	s_xor_b64 s[4:5], exec, s[8:9]
; %bb.52:
	s_lshl_b64 s[0:1], s[6:7], 3
	s_or_b32 s0, s0, 4
	s_mul_i32 s2, s0, s36
	s_mul_hi_u32 s3, s0, s33
	s_add_i32 s2, s3, s2
	s_mul_i32 s1, s1, s33
	s_mov_b64 s[28:29], exec
	s_add_i32 s3, s2, s1
	s_mul_i32 s2, s0, s33
	s_lshl_b64 s[0:1], s[26:27], 3
                                        ; implicit-def: $vgpr2_vgpr3
                                        ; implicit-def: $vgpr5
; %bb.53:
	s_or_saveexec_b64 s[30:31], s[4:5]
	v_pk_mov_b32 v[6:7], s[2:3], s[2:3] op_sel:[0,1]
	v_pk_mov_b32 v[8:9], s[0:1], s[0:1] op_sel:[0,1]
	s_xor_b64 exec, exec, s[30:31]
	s_cbranch_execz .LBB1_57
; %bb.54:
	s_lshl_b64 s[0:1], s[6:7], 3
	s_or_b32 s0, s0, 4
	s_mul_i32 s3, s0, s36
	s_mul_hi_u32 s4, s0, s33
	s_add_i32 s3, s4, s3
	s_mul_i32 s1, s1, s33
	s_lshl_b64 s[34:35], s[26:27], 3
	v_lshlrev_b32_e32 v6, 2, v0
	s_lshl_b32 s46, s45, 3
	s_add_i32 s37, s3, s1
	v_mov_b32_e32 v7, s23
	v_add_co_u32_e32 v6, vcc, s22, v6
	s_mul_i32 s36, s0, s33
	s_add_u32 s0, s20, s26
	v_addc_co_u32_e32 v7, vcc, 0, v7, vcc
	s_addc_u32 s1, s21, s27
	v_and_b32_e32 v4, -2, v2
	s_mov_b32 s2, 0
	v_mov_b32_e32 v9, s1
	v_add_co_u32_e32 v8, vcc, s0, v0
	v_mov_b32_e32 v11, v10
	v_addc_co_u32_e32 v9, vcc, 0, v9, vcc
	s_lshl_b32 s33, s45, 1
	s_mov_b64 s[38:39], 0
	v_mov_b32_e32 v34, s35
	v_mov_b32_e32 v35, s37
	s_mov_b32 s47, 0xbfb8aa3b
	s_mov_b32 s48, 0x42ce8ed0
	;; [unrolled: 1-line block ×3, first 2 shown]
	v_mov_b32_e32 v36, 0x7f800000
	s_movk_i32 s50, 0x80
	s_mov_b64 s[40:41], 0x7f800000
	s_mov_b64 s[42:43], 0x43700001
	s_movk_i32 s51, 0x78
	v_mov_b32_e32 v37, 0x77
	v_mov_b32_e32 v38, 0xffffff8a
	s_movk_i32 s52, 0x7f
	v_mov_b32_e32 v39, s2
	v_mov_b32_e32 v40, s2
	;; [unrolled: 1-line block ×3, first 2 shown]
	v_pk_mov_b32 v[14:15], v[4:5], v[4:5] op_sel:[0,1]
.LBB1_55:                               ; =>This Inner Loop Header: Depth=1
	v_add_co_u32_e32 v18, vcc, s34, v6
	v_addc_co_u32_e32 v19, vcc, v7, v34, vcc
	v_add_co_u32_e32 v24, vcc, s36, v6
	v_addc_co_u32_e32 v25, vcc, v7, v35, vcc
	global_load_dwordx2 v[42:43], v[18:19], off
	global_load_dwordx2 v[44:45], v[24:25], off
	v_add_co_u32_e32 v14, vcc, -2, v14
	v_addc_co_u32_e32 v15, vcc, -1, v15, vcc
	v_add_co_u32_e32 v6, vcc, s46, v6
	v_addc_co_u32_e32 v7, vcc, v7, v39, vcc
	v_mov_b32_e32 v27, v13
	v_mov_b32_e32 v29, v13
	;; [unrolled: 1-line block ×7, first 2 shown]
	v_cmp_eq_u64_e64 s[0:1], 0, v[14:15]
	s_waitcnt vmcnt(1)
	v_mul_f32_e32 v12, 0xbfb8aa3b, v43
	v_mul_f32_e32 v16, 0xbfb8aa3b, v42
	v_fma_f32 v18, v43, s47, -v12
	v_rndne_f32_e32 v19, v12
	v_fma_f32 v20, v42, s47, -v16
	v_rndne_f32_e32 v22, v16
	v_fmac_f32_e32 v18, 0xb2a5705f, v43
	v_sub_f32_e32 v12, v12, v19
	v_fmac_f32_e32 v20, 0xb2a5705f, v42
	v_sub_f32_e32 v16, v16, v22
	v_add_f32_e32 v12, v12, v18
	v_add_f32_e32 v16, v16, v20
	v_cvt_i32_f32_e32 v19, v19
	v_cvt_i32_f32_e32 v22, v22
	v_exp_f32_e32 v12, v12
	v_exp_f32_e32 v16, v16
	v_cmp_nlt_f32_e32 vcc, s48, v42
	v_cmp_nlt_f32_e64 s[2:3], s48, v43
	v_ldexp_f32 v12, v12, v19
	v_ldexp_f32 v16, v16, v22
	v_cndmask_b32_e64 v12, 0, v12, s[2:3]
	v_cndmask_b32_e32 v16, 0, v16, vcc
	v_cmp_ngt_f32_e32 vcc, s49, v42
	v_cmp_ngt_f32_e64 s[2:3], s49, v43
	v_cndmask_b32_e64 v19, v36, v12, s[2:3]
	v_cndmask_b32_e32 v18, v36, v16, vcc
	v_pk_add_f32 v[18:19], v[18:19], 1.0 op_sel_hi:[1,0]
	v_div_scale_f32 v12, s[2:3], v19, v19, v43
	v_div_scale_f32 v20, s[2:3], v18, v18, v42
	v_rcp_f32_e32 v24, v12
	v_rcp_f32_e32 v25, v20
	v_div_scale_f32 v16, vcc, v43, v19, v43
	v_fma_f32 v26, -v12, v24, 1.0
	v_fma_f32 v28, -v20, v25, 1.0
	v_fmac_f32_e32 v24, v26, v24
	v_div_scale_f32 v22, s[2:3], v42, v18, v42
	v_fmac_f32_e32 v25, v28, v25
	v_mul_f32_e32 v26, v16, v24
	v_mul_f32_e32 v28, v22, v25
	v_fma_f32 v30, -v12, v26, v16
	v_fma_f32 v32, -v20, v28, v22
	v_fmac_f32_e32 v26, v30, v24
	v_fmac_f32_e32 v28, v32, v25
	v_fma_f32 v12, -v12, v26, v16
	v_fma_f32 v16, -v20, v28, v22
	v_div_fmas_f32 v12, v12, v24, v26
	s_mov_b64 vcc, s[2:3]
	v_div_fixup_f32 v19, v12, v19, v43
	v_div_fmas_f32 v12, v16, v25, v28
	v_div_fixup_f32 v18, v12, v18, v42
	s_waitcnt vmcnt(0)
	v_pk_mul_f32 v[18:19], v[44:45], v[18:19]
	v_pk_mul_f32 v[18:19], v[10:11], v[18:19]
	v_min_f32_e32 v12, 0x43600000, v19
	v_min_f32_e32 v16, 0x43600000, v18
	v_max_f32_e32 v18, 0xc3600000, v12
	v_max_f32_e32 v16, 0xc3600000, v16
	v_bfe_u32 v24, v18, 23, 8
	v_and_b32_e32 v20, 0x7fffff, v16
	v_bfe_u32 v22, v16, 23, 8
	v_and_b32_sdwa v41, v16, s50 dst_sel:DWORD dst_unused:UNUSED_PAD src0_sel:BYTE_3 src1_sel:DWORD
	v_and_b32_e32 v12, 0x7f800000, v16
	v_and_b32_e32 v26, 0x7f800000, v18
	;; [unrolled: 1-line block ×3, first 2 shown]
	v_cmp_eq_u32_e32 vcc, 0, v16
	v_cmp_ne_u32_e64 s[4:5], 0, v16
	v_or_b32_sdwa v25, v16, s52 dst_sel:DWORD dst_unused:UNUSED_PAD src0_sel:BYTE_3 src1_sel:DWORD
	v_sub_u32_e64 v16, s51, v24 clamp
	v_cmp_eq_u32_e64 s[14:15], 0, v24
	v_and_b32_e32 v19, 0x7fffff, v18
	v_and_b32_sdwa v46, v18, s50 dst_sel:DWORD dst_unused:UNUSED_PAD src0_sel:BYTE_3 src1_sel:DWORD
	v_cmp_eq_u32_e64 s[2:3], 0, v18
	v_cmp_ne_u32_e64 s[6:7], 0, v18
	v_or_b32_sdwa v30, v18, s52 dst_sel:DWORD dst_unused:UNUSED_PAD src0_sel:BYTE_3 src1_sel:DWORD
	v_cmp_ne_u64_e64 s[8:9], s[40:41], v[26:27]
	v_cmp_ne_u64_e64 s[10:11], s[40:41], v[12:13]
	v_and_b32_e32 v12, 0x7fffffff, v18
	v_cmp_gt_u64_e64 s[12:13], s[42:43], v[28:29]
	v_sub_u32_e64 v18, s51, v22 clamp
	v_or_b32_e32 v26, 0x800000, v20
	v_add_u32_e32 v28, 0xffffff89, v22
	v_cmp_eq_u32_e64 s[16:17], 0, v22
	v_cndmask_b32_e64 v47, v16, v37, s[14:15]
	v_or_b32_e32 v27, 0x800000, v19
	s_and_b64 s[10:11], s[10:11], s[12:13]
	v_cndmask_b32_e64 v22, v18, v37, s[16:17]
	v_cndmask_b32_e64 v16, v26, v20, s[16:17]
	v_cndmask_b32_e64 v20, v28, v38, s[16:17]
	v_add_u32_e32 v28, 20, v47
	v_add_u32_e32 v24, 0xffffff89, v24
	v_cmp_gt_u64_e64 s[18:19], s[42:43], v[12:13]
	v_cndmask_b32_e64 v12, v27, v19, s[14:15]
	s_and_b64 s[12:13], s[10:11], vcc
	v_lshrrev_b64 v[18:19], v22, v[16:17]
	v_lshlrev_b64 v[28:29], v28, -1
	v_cndmask_b32_e64 v48, v24, v38, s[14:15]
	s_and_b64 s[8:9], s[8:9], s[18:19]
	v_cndmask_b32_e64 v49, v25, 0, s[12:13]
	v_add_u32_e32 v26, 20, v22
	v_add_u32_e32 v32, 19, v47
	v_lshrrev_b64 v[24:25], v47, v[12:13]
	v_lshrrev_b32_e32 v17, 23, v18
	v_not_b32_e32 v28, v28
	v_add_u32_e32 v42, 19, v22
	s_and_b64 s[2:3], s[8:9], s[2:3]
	v_lshlrev_b64 v[26:27], v26, -1
	v_lshlrev_b64 v[44:45], v32, 1
	v_and_b32_e32 v32, 0x100000, v24
	v_add3_u32 v29, v20, v22, v17
	v_and_b32_e32 v22, v12, v28
	s_and_b64 vcc, s[10:11], s[4:5]
	v_cndmask_b32_e64 v50, v30, 0, s[2:3]
	s_and_b64 s[2:3], s[8:9], s[6:7]
	v_not_b32_e32 v26, v26
	v_cmp_eq_u64_e64 s[4:5], 0, v[32:33]
	v_cmp_eq_u64_e64 s[6:7], v[22:23], v[44:45]
	v_lshlrev_b64 v[42:43], v42, 1
	v_and_b32_e32 v20, v16, v26
	v_and_b32_e32 v12, 0x100000, v18
	s_and_b64 s[4:5], s[4:5], s[6:7]
	v_cmp_eq_u64_e64 s[8:9], v[20:21], v[42:43]
	v_cmp_eq_u64_e64 s[10:11], 0, v[12:13]
	v_subbrev_co_u32_e64 v12, s[4:5], 0, v24, s[4:5]
	s_and_b64 s[4:5], s[10:11], s[8:9]
	v_subbrev_co_u32_e64 v16, s[4:5], 0, v18, s[4:5]
	v_and_b32_e32 v12, 0xfffff, v12
	v_and_b32_e32 v20, 0xfffff, v16
	v_add_co_u32_e64 v16, s[4:5], v12, v24
	v_addc_co_u32_e64 v17, s[4:5], 0, v25, s[4:5]
	v_lshrrev_b32_e32 v27, 23, v24
	v_add_co_u32_e64 v18, s[4:5], v20, v18
	v_add3_u32 v27, v48, v47, v27
	v_add_u32_e32 v26, -1, v29
	v_addc_co_u32_e64 v19, s[4:5], 0, v19, s[4:5]
	v_and_b32_e32 v12, 0x1000000, v18
	v_add_u32_e32 v28, -1, v27
	v_cmp_ne_u32_e64 s[14:15], 0, v26
	v_and_b32_e32 v30, 0x1000000, v16
	v_cmp_eq_u64_e64 s[4:5], 0, v[12:13]
	v_cmp_ne_u32_e64 s[12:13], 0, v28
	v_bfe_u32 v20, v18, 23, 1
	v_cndmask_b32_e64 v12, v29, v26, s[4:5]
	s_and_b64 s[4:5], vcc, s[14:15]
	v_cmp_eq_u64_e64 s[6:7], 0, v[30:31]
	v_bfe_u32 v21, v16, 23, 1
	v_cndmask_b32_e64 v22, v27, v28, s[6:7]
	s_and_b64 s[6:7], s[2:3], s[12:13]
	v_cndmask_b32_e64 v12, v20, v12, s[4:5]
	v_cndmask_b32_e64 v20, 0, 1, s[4:5]
	;; [unrolled: 1-line block ×4, first 2 shown]
	v_and_b32_sdwa v20, v20, v18 dst_sel:DWORD dst_unused:UNUSED_PAD src0_sel:DWORD src1_sel:BYTE_3
	v_and_b32_sdwa v22, v22, v16 dst_sel:DWORD dst_unused:UNUSED_PAD src0_sel:DWORD src1_sel:BYTE_3
	v_lshrrev_b64 v[18:19], v20, v[18:19]
	v_lshrrev_b64 v[16:17], v22, v[16:17]
	;; [unrolled: 1-line block ×3, first 2 shown]
	v_cmp_gt_i32_e64 s[8:9], 16, v12
	v_min_i32_e32 v23, 15, v12
	v_lshrrev_b64 v[16:17], 20, v[16:17]
	v_cmp_gt_i32_e64 s[10:11], 16, v21
	v_cndmask_b32_e64 v19, 0, v19, s[8:9]
	v_cndmask_b32_e64 v18, 7, v18, s[8:9]
	v_min_i32_e32 v24, 15, v21
	v_cmp_eq_u32_e64 s[4:5], 0, v12
	v_lshl_or_b32 v22, v23, 3, v41
	v_cndmask_b32_e64 v17, 0, v17, s[10:11]
	v_cndmask_b32_e64 v16, 7, v16, s[10:11]
	v_cmp_eq_u64_e64 s[8:9], 0, v[18:19]
	v_cmp_eq_u32_e64 s[6:7], 0, v21
	v_lshl_or_b32 v20, v24, 3, v46
	v_cmp_eq_u64_e64 s[10:11], 0, v[16:17]
	v_and_or_b32 v12, v18, 7, v22
	s_and_b64 s[4:5], s[4:5], s[8:9]
	v_and_or_b32 v16, v16, 7, v20
	v_cndmask_b32_e64 v12, v12, 0, s[4:5]
	s_and_b64 s[4:5], s[6:7], s[10:11]
	v_cndmask_b32_e64 v16, v16, 0, s[4:5]
	v_cndmask_b32_e64 v16, v50, v16, s[2:3]
	v_cndmask_b32_e32 v12, v49, v12, vcc
	v_lshlrev_b16_e32 v16, 8, v16
	v_or_b32_sdwa v12, v12, v16 dst_sel:DWORD dst_unused:UNUSED_PAD src0_sel:BYTE_0 src1_sel:DWORD
	global_store_short v[8:9], v12, off
	v_add_co_u32_e32 v8, vcc, s33, v8
	s_or_b64 s[38:39], s[0:1], s[38:39]
	v_addc_co_u32_e32 v9, vcc, v9, v40, vcc
	s_andn2_b64 exec, exec, s[38:39]
	s_cbranch_execnz .LBB1_55
; %bb.56:
	s_or_b64 exec, exec, s[38:39]
	v_mad_u64_u32 v[0:1], s[0:1], v4, s45, v[0:1]
	v_mov_b32_e32 v6, v1
	v_mad_u64_u32 v[6:7], s[0:1], v5, s45, v[6:7]
	v_cmp_ne_u64_e32 vcc, v[2:3], v[4:5]
	s_andn2_b64 s[0:1], s[28:29], exec
	s_and_b64 s[2:3], vcc, exec
	v_mov_b32_e32 v1, v6
	v_pk_mov_b32 v[6:7], s[36:37], s[36:37] op_sel:[0,1]
	v_pk_mov_b32 v[8:9], s[34:35], s[34:35] op_sel:[0,1]
	s_or_b64 s[28:29], s[0:1], s[2:3]
.LBB1_57:
	s_or_b64 exec, exec, s[30:31]
	s_and_b64 exec, exec, s[28:29]
	s_cbranch_execz .LBB1_70
; %bb.58:
	v_lshlrev_b64 v[2:3], 2, v[0:1]
	s_add_u32 s14, s20, s26
	v_mov_b32_e32 v4, s23
	v_add_co_u32_e32 v2, vcc, s22, v2
	s_addc_u32 s15, s21, s27
	v_addc_co_u32_e32 v3, vcc, v4, v3, vcc
	s_lshl_b32 s16, s45, 2
	s_mov_b32 s17, 0
	s_mov_b64 s[2:3], 0
	s_mov_b32 s18, 0xbfb8aa3b
	s_mov_b32 s19, 0x42ce8ed0
	;; [unrolled: 1-line block ×3, first 2 shown]
	v_mov_b32_e32 v11, 0x7f800000
	v_mov_b32_e32 v5, 0
	s_movk_i32 s21, 0x7f
	s_mov_b64 s[4:5], 0x7f800000
	s_mov_b64 s[6:7], 0x43700001
	s_movk_i32 s22, 0x78
	s_movk_i32 s23, 0x80
	v_mov_b32_e32 v14, 0x77
	v_mov_b32_e32 v15, 0xffffff8a
	s_branch .LBB1_63
.LBB1_59:                               ;   in Loop: Header=BB1_63 Depth=1
	s_or_b64 exec, exec, s[0:1]
	v_lshrrev_b64 v[12:13], 20, v[12:13]
	v_cmp_gt_i32_e32 vcc, 16, v4
	v_and_b32_sdwa v16, v16, s23 dst_sel:DWORD dst_unused:UNUSED_PAD src0_sel:BYTE_3 src1_sel:DWORD
	v_min_i32_e32 v17, 15, v4
	v_cndmask_b32_e32 v13, 0, v13, vcc
	v_cndmask_b32_e32 v12, 7, v12, vcc
	v_cmp_eq_u32_e32 vcc, 0, v4
	v_cmp_eq_u64_e64 s[0:1], 0, v[12:13]
	v_lshl_or_b32 v4, v17, 3, v16
	v_and_or_b32 v4, v12, 7, v4
	s_and_b64 s[0:1], vcc, s[0:1]
	v_cndmask_b32_e64 v12, v4, 0, s[0:1]
.LBB1_60:                               ;   in Loop: Header=BB1_63 Depth=1
	s_or_b64 exec, exec, s[12:13]
.LBB1_61:                               ;   in Loop: Header=BB1_63 Depth=1
	s_andn2_saveexec_b64 s[0:1], s[10:11]
	s_or_b64 exec, exec, s[0:1]
.LBB1_62:                               ;   in Loop: Header=BB1_63 Depth=1
	s_andn2_saveexec_b64 s[0:1], s[8:9]
	s_or_b64 exec, exec, s[0:1]
	v_mov_b32_e32 v4, s15
	v_add_co_u32_e32 v16, vcc, s14, v0
	v_addc_co_u32_e32 v17, vcc, v4, v1, vcc
	v_mov_b32_e32 v4, s44
	v_add_co_u32_e32 v0, vcc, s45, v0
	v_addc_co_u32_e32 v1, vcc, v1, v4, vcc
	v_cmp_le_i64_e32 vcc, s[24:25], v[0:1]
	v_mov_b32_e32 v4, s17
	s_or_b64 s[2:3], vcc, s[2:3]
	v_add_co_u32_e32 v2, vcc, s16, v2
	v_addc_co_u32_e32 v3, vcc, v3, v4, vcc
	global_store_byte v[16:17], v12, off
	s_andn2_b64 exec, exec, s[2:3]
	s_cbranch_execz .LBB1_70
.LBB1_63:                               ; =>This Inner Loop Header: Depth=1
	v_add_co_u32_e32 v12, vcc, v2, v8
	v_addc_co_u32_e32 v13, vcc, v3, v9, vcc
	global_load_dword v4, v[12:13], off
	v_add_co_u32_e32 v12, vcc, v2, v6
	v_addc_co_u32_e32 v13, vcc, v3, v7, vcc
	global_load_dword v12, v[12:13], off
	s_waitcnt vmcnt(1)
	v_mul_f32_e32 v13, 0xbfb8aa3b, v4
	v_fma_f32 v16, v4, s18, -v13
	v_rndne_f32_e32 v17, v13
	v_fmac_f32_e32 v16, 0xb2a5705f, v4
	v_sub_f32_e32 v13, v13, v17
	v_add_f32_e32 v13, v13, v16
	v_cvt_i32_f32_e32 v17, v17
	v_exp_f32_e32 v13, v13
	v_cmp_nlt_f32_e32 vcc, s19, v4
	v_ldexp_f32 v13, v13, v17
	v_cndmask_b32_e32 v13, 0, v13, vcc
	v_cmp_ngt_f32_e32 vcc, s20, v4
	v_cndmask_b32_e32 v13, v11, v13, vcc
	v_add_f32_e32 v13, 1.0, v13
	v_div_scale_f32 v16, s[0:1], v13, v13, v4
	v_rcp_f32_e32 v17, v16
	v_div_scale_f32 v18, vcc, v4, v13, v4
	v_fma_f32 v19, -v16, v17, 1.0
	v_fmac_f32_e32 v17, v19, v17
	v_mul_f32_e32 v19, v18, v17
	v_fma_f32 v20, -v16, v19, v18
	v_fmac_f32_e32 v19, v20, v17
	v_fma_f32 v16, -v16, v19, v18
	v_div_fmas_f32 v16, v16, v17, v19
	v_div_fixup_f32 v4, v16, v13, v4
	s_waitcnt vmcnt(0)
	v_mul_f32_e32 v4, v12, v4
	v_mul_f32_e32 v4, v10, v4
	v_min_f32_e32 v4, 0x43600000, v4
	v_max_f32_e32 v16, 0xc3600000, v4
	v_and_b32_e32 v4, 0x7f800000, v16
	v_or_b32_sdwa v12, v16, s21 dst_sel:DWORD dst_unused:UNUSED_PAD src0_sel:BYTE_3 src1_sel:DWORD
	v_cmp_ne_u64_e32 vcc, s[4:5], v[4:5]
                                        ; kill: def $vgpr4 killed $sgpr0 killed $exec
	s_and_saveexec_b64 s[0:1], vcc
	s_xor_b64 s[8:9], exec, s[0:1]
	s_cbranch_execz .LBB1_62
; %bb.64:                               ;   in Loop: Header=BB1_63 Depth=1
	v_and_b32_e32 v4, 0x7fffffff, v16
	v_cmp_gt_u64_e32 vcc, s[6:7], v[4:5]
                                        ; kill: def $vgpr4 killed $sgpr0 killed $exec
	s_and_saveexec_b64 s[0:1], vcc
	s_xor_b64 s[10:11], exec, s[0:1]
	s_cbranch_execz .LBB1_61
; %bb.65:                               ;   in Loop: Header=BB1_63 Depth=1
	v_cmp_ne_u32_e32 vcc, 0, v16
	v_mov_b32_e32 v12, 0
	s_and_saveexec_b64 s[12:13], vcc
	s_cbranch_execz .LBB1_60
; %bb.66:                               ;   in Loop: Header=BB1_63 Depth=1
	v_bfe_u32 v12, v16, 23, 8
	v_sub_u32_e64 v13, s22, v12 clamp
	v_cmp_eq_u32_e32 vcc, 0, v12
	v_cndmask_b32_e32 v21, v13, v14, vcc
	v_and_b32_e32 v4, 0x7fffff, v16
	v_add_u32_e32 v20, 0xffffff89, v12
	v_add_u32_e32 v12, 20, v21
	v_or_b32_e32 v17, 0x800000, v4
	v_lshlrev_b64 v[12:13], v12, -1
	v_cndmask_b32_e32 v4, v17, v4, vcc
	v_not_b32_e32 v12, v12
	v_add_u32_e32 v17, 19, v21
	v_and_b32_e32 v12, v4, v12
	v_mov_b32_e32 v13, v5
	v_lshlrev_b64 v[18:19], v17, 1
	v_cmp_eq_u64_e64 s[0:1], v[12:13], v[18:19]
	v_lshrrev_b64 v[12:13], v21, v[4:5]
	v_cndmask_b32_e32 v4, v20, v15, vcc
	v_lshrrev_b32_e32 v17, 23, v12
	v_add3_u32 v17, v4, v21, v17
	v_and_b32_e32 v4, 0x100000, v12
	v_cmp_eq_u64_e32 vcc, 0, v[4:5]
	s_and_b64 vcc, vcc, s[0:1]
	v_subbrev_co_u32_e32 v4, vcc, 0, v12, vcc
	v_and_b32_e32 v4, 0xfffff, v4
	v_add_co_u32_e32 v12, vcc, v4, v12
	v_add_u32_e32 v18, -1, v17
	v_addc_co_u32_e32 v13, vcc, 0, v13, vcc
	v_cmp_ne_u32_e32 vcc, 0, v18
                                        ; implicit-def: $vgpr4
	s_and_saveexec_b64 s[0:1], vcc
	s_xor_b64 s[0:1], exec, s[0:1]
; %bb.67:                               ;   in Loop: Header=BB1_63 Depth=1
	v_and_b32_e32 v4, 0x1000000, v12
	v_cmp_eq_u64_e32 vcc, 0, v[4:5]
	v_cndmask_b32_e32 v4, v17, v18, vcc
	v_bfe_u32 v17, v12, 24, 1
	v_lshrrev_b64 v[12:13], v17, v[12:13]
; %bb.68:                               ;   in Loop: Header=BB1_63 Depth=1
	s_andn2_saveexec_b64 s[0:1], s[0:1]
	s_cbranch_execz .LBB1_59
; %bb.69:                               ;   in Loop: Header=BB1_63 Depth=1
	v_bfe_u32 v4, v12, 23, 1
	s_branch .LBB1_59
.LBB1_70:
	s_endpgm
	.section	.rodata,"a",@progbits
	.p2align	6, 0x0
	.amdhsa_kernel _ZN4vllm24act_and_mul_quant_kernelIfTnPFT_RKS1_EXadL_ZNS_11silu_kernelIfEES1_S3_EEN3c1015Float8_e4m3fnuzEEEvPT1_PS2_PKfi
		.amdhsa_group_segment_fixed_size 0
		.amdhsa_private_segment_fixed_size 0
		.amdhsa_kernarg_size 288
		.amdhsa_user_sgpr_count 6
		.amdhsa_user_sgpr_private_segment_buffer 1
		.amdhsa_user_sgpr_dispatch_ptr 0
		.amdhsa_user_sgpr_queue_ptr 0
		.amdhsa_user_sgpr_kernarg_segment_ptr 1
		.amdhsa_user_sgpr_dispatch_id 0
		.amdhsa_user_sgpr_flat_scratch_init 0
		.amdhsa_user_sgpr_kernarg_preload_length 0
		.amdhsa_user_sgpr_kernarg_preload_offset 0
		.amdhsa_user_sgpr_private_segment_size 0
		.amdhsa_uses_dynamic_stack 0
		.amdhsa_system_sgpr_private_segment_wavefront_offset 0
		.amdhsa_system_sgpr_workgroup_id_x 1
		.amdhsa_system_sgpr_workgroup_id_y 1
		.amdhsa_system_sgpr_workgroup_id_z 0
		.amdhsa_system_sgpr_workgroup_info 0
		.amdhsa_system_vgpr_workitem_id 0
		.amdhsa_next_free_vgpr 51
		.amdhsa_next_free_sgpr 53
		.amdhsa_accum_offset 52
		.amdhsa_reserve_vcc 1
		.amdhsa_reserve_flat_scratch 0
		.amdhsa_float_round_mode_32 0
		.amdhsa_float_round_mode_16_64 0
		.amdhsa_float_denorm_mode_32 3
		.amdhsa_float_denorm_mode_16_64 3
		.amdhsa_dx10_clamp 1
		.amdhsa_ieee_mode 1
		.amdhsa_fp16_overflow 0
		.amdhsa_tg_split 0
		.amdhsa_exception_fp_ieee_invalid_op 0
		.amdhsa_exception_fp_denorm_src 0
		.amdhsa_exception_fp_ieee_div_zero 0
		.amdhsa_exception_fp_ieee_overflow 0
		.amdhsa_exception_fp_ieee_underflow 0
		.amdhsa_exception_fp_ieee_inexact 0
		.amdhsa_exception_int_div_zero 0
	.end_amdhsa_kernel
	.section	.text._ZN4vllm24act_and_mul_quant_kernelIfTnPFT_RKS1_EXadL_ZNS_11silu_kernelIfEES1_S3_EEN3c1015Float8_e4m3fnuzEEEvPT1_PS2_PKfi,"axG",@progbits,_ZN4vllm24act_and_mul_quant_kernelIfTnPFT_RKS1_EXadL_ZNS_11silu_kernelIfEES1_S3_EEN3c1015Float8_e4m3fnuzEEEvPT1_PS2_PKfi,comdat
.Lfunc_end1:
	.size	_ZN4vllm24act_and_mul_quant_kernelIfTnPFT_RKS1_EXadL_ZNS_11silu_kernelIfEES1_S3_EEN3c1015Float8_e4m3fnuzEEEvPT1_PS2_PKfi, .Lfunc_end1-_ZN4vllm24act_and_mul_quant_kernelIfTnPFT_RKS1_EXadL_ZNS_11silu_kernelIfEES1_S3_EEN3c1015Float8_e4m3fnuzEEEvPT1_PS2_PKfi
                                        ; -- End function
	.section	.AMDGPU.csdata,"",@progbits
; Kernel info:
; codeLenInByte = 6388
; NumSgprs: 57
; NumVgprs: 51
; NumAgprs: 0
; TotalNumVgprs: 51
; ScratchSize: 0
; MemoryBound: 0
; FloatMode: 240
; IeeeMode: 1
; LDSByteSize: 0 bytes/workgroup (compile time only)
; SGPRBlocks: 7
; VGPRBlocks: 6
; NumSGPRsForWavesPerEU: 57
; NumVGPRsForWavesPerEU: 51
; AccumOffset: 52
; Occupancy: 8
; WaveLimiterHint : 0
; COMPUTE_PGM_RSRC2:SCRATCH_EN: 0
; COMPUTE_PGM_RSRC2:USER_SGPR: 6
; COMPUTE_PGM_RSRC2:TRAP_HANDLER: 0
; COMPUTE_PGM_RSRC2:TGID_X_EN: 1
; COMPUTE_PGM_RSRC2:TGID_Y_EN: 1
; COMPUTE_PGM_RSRC2:TGID_Z_EN: 0
; COMPUTE_PGM_RSRC2:TIDIG_COMP_CNT: 0
; COMPUTE_PGM_RSRC3_GFX90A:ACCUM_OFFSET: 12
; COMPUTE_PGM_RSRC3_GFX90A:TG_SPLIT: 0
	.section	.text._ZN4vllm24act_and_mul_quant_kernelIN3c104HalfETnPFT_RKS3_EXadL_ZNS_11silu_kernelIS2_EES3_S5_EENS1_13Float8_e4m3fnEEEvPT1_PS4_PKfi,"axG",@progbits,_ZN4vllm24act_and_mul_quant_kernelIN3c104HalfETnPFT_RKS3_EXadL_ZNS_11silu_kernelIS2_EES3_S5_EENS1_13Float8_e4m3fnEEEvPT1_PS4_PKfi,comdat
	.protected	_ZN4vllm24act_and_mul_quant_kernelIN3c104HalfETnPFT_RKS3_EXadL_ZNS_11silu_kernelIS2_EES3_S5_EENS1_13Float8_e4m3fnEEEvPT1_PS4_PKfi ; -- Begin function _ZN4vllm24act_and_mul_quant_kernelIN3c104HalfETnPFT_RKS3_EXadL_ZNS_11silu_kernelIS2_EES3_S5_EENS1_13Float8_e4m3fnEEEvPT1_PS4_PKfi
	.globl	_ZN4vllm24act_and_mul_quant_kernelIN3c104HalfETnPFT_RKS3_EXadL_ZNS_11silu_kernelIS2_EES3_S5_EENS1_13Float8_e4m3fnEEEvPT1_PS4_PKfi
	.p2align	8
	.type	_ZN4vllm24act_and_mul_quant_kernelIN3c104HalfETnPFT_RKS3_EXadL_ZNS_11silu_kernelIS2_EES3_S5_EENS1_13Float8_e4m3fnEEEvPT1_PS4_PKfi,@function
_ZN4vllm24act_and_mul_quant_kernelIN3c104HalfETnPFT_RKS3_EXadL_ZNS_11silu_kernelIS2_EES3_S5_EENS1_13Float8_e4m3fnEEEvPT1_PS4_PKfi: ; @_ZN4vllm24act_and_mul_quant_kernelIN3c104HalfETnPFT_RKS3_EXadL_ZNS_11silu_kernelIS2_EES3_S5_EENS1_13Float8_e4m3fnEEEvPT1_PS4_PKfi
; %bb.0:
	s_load_dword s1, s[4:5], 0x24
	s_load_dword s22, s[4:5], 0x18
	s_add_u32 s2, s4, 32
	s_mov_b32 s0, s7
	s_addc_u32 s3, s5, 0
	s_waitcnt lgkmcnt(0)
	s_abs_i32 s7, s1
	v_cvt_f32_u32_e32 v1, s7
	s_sub_i32 s9, 0, s7
	s_add_i32 s8, s22, s1
	s_add_i32 s8, s8, -1
	v_rcp_iflag_f32_e32 v1, v1
	s_xor_b32 s1, s8, s1
	s_abs_i32 s8, s8
	s_ashr_i32 s1, s1, 31
	v_mul_f32_e32 v1, 0x4f7ffffe, v1
	v_cvt_u32_f32_e32 v1, v1
	s_load_dwordx4 s[48:51], s[4:5], 0x0
	v_readfirstlane_b32 s10, v1
	s_mul_i32 s9, s9, s10
	s_mul_hi_u32 s9, s10, s9
	s_add_i32 s10, s10, s9
	s_mul_hi_u32 s9, s8, s10
	s_mul_i32 s10, s9, s7
	s_sub_i32 s8, s8, s10
	s_add_i32 s10, s9, 1
	s_sub_i32 s11, s8, s7
	s_cmp_ge_u32 s8, s7
	s_cselect_b32 s9, s10, s9
	s_cselect_b32 s8, s11, s8
	s_add_i32 s10, s9, 1
	s_cmp_ge_u32 s8, s7
	s_cselect_b32 s7, s10, s9
	s_xor_b32 s7, s7, s1
	s_sub_i32 s1, s7, s1
	s_and_b32 s7, s1, 7
	s_cmp_eq_u32 s7, 0
	s_mov_b32 s7, 0
	s_cbranch_scc1 .LBB2_2
; %bb.1:
	s_ashr_i32 s8, s1, 31
	s_lshr_b32 s8, s8, 29
	s_add_i32 s1, s1, s8
	s_and_b32 s1, s1, -8
	s_add_i32 s1, s1, 8
.LBB2_2:
	s_mul_i32 s8, s1, s0
	s_add_i32 s0, s8, s1
	s_min_i32 s52, s0, s22
	s_abs_i32 s9, s52
	v_cvt_f32_u32_e32 v1, s9
	s_load_dwordx2 s[0:1], s[4:5], 0x10
	s_ashr_i32 s23, s22, 31
	s_mul_hi_u32 s4, s22, s6
	v_rcp_iflag_f32_e32 v1, v1
	s_mul_i32 s5, s23, s6
	s_add_i32 s55, s4, s5
	s_sub_i32 s4, 0, s9
	v_mul_f32_e32 v1, 0x4f7ffffe, v1
	v_cvt_u32_f32_e32 v1, v1
	s_waitcnt lgkmcnt(0)
	s_load_dword s5, s[0:1], 0x0
	s_mul_i32 s54, s22, s6
	v_readfirstlane_b32 s0, v1
	s_mul_i32 s4, s4, s0
	s_mul_hi_u32 s1, s0, s4
	s_add_i32 s0, s0, s1
	s_lshr_b32 s0, s0, 29
	s_mul_i32 s0, s0, s9
	s_sub_i32 s0, 8, s0
	s_sub_i32 s1, s0, s9
	s_cmp_ge_u32 s0, s9
	s_cselect_b32 s0, s1, s0
	s_sub_i32 s1, s0, s9
	s_cmp_ge_u32 s0, s9
	s_cselect_b32 s24, s1, s0
	s_cmp_eq_u32 s24, 0
	s_cselect_b64 s[0:1], -1, 0
	v_cndmask_b32_e64 v11, 0, 1, s[0:1]
	s_waitcnt lgkmcnt(0)
	v_div_scale_f32 v1, s[0:1], s5, s5, 1.0
	v_rcp_f32_e32 v2, v1
	s_ashr_i32 s4, s8, 31
	s_lshr_b32 s0, s4, 29
	s_add_i32 s8, s8, s0
	v_fma_f32 v3, -v1, v2, 1.0
	v_fmac_f32_e32 v2, v3, v2
	v_div_scale_f32 v3, vcc, 1.0, s5, 1.0
	v_mul_f32_e32 v4, v3, v2
	v_fma_f32 v5, -v1, v4, v3
	v_fmac_f32_e32 v4, v5, v2
	s_ashr_i32 s0, s8, 3
	v_fma_f32 v1, -v1, v4, v3
	v_div_fmas_f32 v1, v1, v2, v4
	v_add_u32_e32 v13, s0, v0
	v_div_fixup_f32 v10, v1, s5, 1.0
	v_cmp_lt_i32_e32 vcc, v13, v11
	s_and_saveexec_b64 s[4:5], vcc
	s_cbranch_execz .LBB2_133
; %bb.3:
	s_load_dword s1, s[2:3], 0xc
	s_ashr_i32 s10, s0, 31
	v_add_co_u32_e32 v2, vcc, s0, v0
	v_mov_b32_e32 v1, s10
	s_waitcnt lgkmcnt(0)
	s_and_b32 s26, s1, 0xffff
	s_lshl_b64 s[0:1], s[6:7], 2
	s_or_b32 s0, s0, 2
	s_mul_i32 s10, s0, s23
	s_mul_hi_u32 s11, s0, s22
	v_addc_co_u32_e32 v3, vcc, 0, v1, vcc
	s_add_i32 s10, s11, s10
	s_mul_i32 s1, s1, s22
	s_lshl_b64 s[8:9], s[54:55], 2
	v_lshlrev_b64 v[4:5], 4, v[2:3]
	s_lshl_b32 s27, s26, 4
	s_add_i32 s1, s10, s1
	v_mov_b32_e32 v1, s51
	v_add_co_u32_e32 v12, vcc, s50, v4
	s_mul_i32 s28, s0, s22
	s_add_u32 s0, s48, s54
	v_addc_co_u32_e32 v1, vcc, v1, v5, vcc
	v_lshlrev_b64 v[2:3], 3, v[2:3]
	s_addc_u32 s10, s49, s55
	s_mov_b32 s25, 0
	v_mov_b32_e32 v4, s10
	v_add_co_u32_e32 v14, vcc, s0, v2
	v_addc_co_u32_e32 v15, vcc, v4, v3, vcc
	s_lshl_b32 s29, s26, 3
	s_mov_b32 s30, s25
	s_mov_b64 s[10:11], 0
	v_mov_b32_e32 v30, s9
	v_mov_b32_e32 v31, s1
	s_mov_b32 s9, 0x3fb8aa3b
	s_mov_b32 s31, 0x32a5705f
	;; [unrolled: 1-line block ×4, first 2 shown]
	v_mov_b32_e32 v32, 0x7f800000
	v_mov_b32_e32 v17, 0
	s_movk_i32 s35, 0x80
	s_mov_b64 s[12:13], 0x7f800000
	s_mov_b64 s[14:15], 0x43e00001
	s_movk_i32 s36, 0x79
	s_movk_i32 s37, 0x7f
	s_mov_b32 s38, 0xff00
	s_mov_b32 s39, 0x4020c0c
	v_mov_b32_e32 v33, 0x78
	v_mov_b32_e32 v34, 0xffffff89
	s_branch .LBB2_5
.LBB2_4:                                ;   in Loop: Header=BB2_5 Depth=1
	s_or_b64 exec, exec, s[0:1]
	v_lshlrev_b32_e32 v4, 16, v26
	v_lshlrev_b32_e32 v3, 24, v8
	v_and_b32_e32 v4, 0xff0000, v4
	v_or_b32_e32 v3, v3, v4
	v_lshlrev_b32_e32 v4, 8, v24
	v_and_b32_e32 v4, 0xff00, v4
	v_and_b32_e32 v5, 0xff, v6
	v_or3_b32 v3, v3, v4, v5
	v_lshlrev_b32_e32 v4, 16, v22
	v_lshlrev_b32_e32 v5, 8, v20
	v_perm_b32 v2, v2, v4, s39
	v_and_or_b32 v2, v5, s38, v2
	v_or_b32_sdwa v2, v2, v18 dst_sel:DWORD dst_unused:UNUSED_PAD src0_sel:DWORD src1_sel:BYTE_0
	global_store_dwordx2 v[14:15], v[2:3], off
	v_mov_b32_e32 v2, s25
	v_add_co_u32_e32 v12, vcc, s27, v12
	v_add_u32_e32 v13, s26, v13
	v_addc_co_u32_e32 v1, vcc, v1, v2, vcc
	v_cmp_ge_i32_e32 vcc, v13, v11
	v_mov_b32_e32 v2, s30
	s_or_b64 s[10:11], vcc, s[10:11]
	v_add_co_u32_e32 v14, vcc, s29, v14
	v_addc_co_u32_e32 v15, vcc, v15, v2, vcc
	s_andn2_b64 exec, exec, s[10:11]
	s_cbranch_execz .LBB2_133
.LBB2_5:                                ; =>This Inner Loop Header: Depth=1
	v_add_co_u32_e32 v2, vcc, s8, v12
	v_addc_co_u32_e32 v3, vcc, v1, v30, vcc
	global_load_dwordx4 v[6:9], v[2:3], off
	v_add_co_u32_e32 v2, vcc, s28, v12
	v_addc_co_u32_e32 v3, vcc, v1, v31, vcc
	global_load_dwordx4 v[2:5], v[2:3], off
	s_waitcnt vmcnt(1)
	v_cvt_f32_f16_e64 v16, -v6
	v_mul_f32_e32 v18, 0x3fb8aa3b, v16
	v_fma_mix_f32 v19, -v6, s9, -v18 op_sel_hi:[1,0,0]
	v_rndne_f32_e32 v20, v18
	v_fma_mix_f32 v19, -v6, s31, v19 op_sel_hi:[1,0,0]
	v_sub_f32_e32 v18, v18, v20
	v_add_f32_e32 v18, v18, v19
	v_cvt_i32_f32_e32 v20, v20
	v_exp_f32_e32 v18, v18
	v_cvt_f32_f16_e32 v19, v6
	v_cmp_ngt_f32_e32 vcc, s33, v16
	v_ldexp_f32 v18, v18, v20
	v_cndmask_b32_e32 v18, 0, v18, vcc
	v_cmp_nlt_f32_e32 vcc, s34, v16
	v_cndmask_b32_e32 v16, v32, v18, vcc
	v_add_f32_e32 v16, 1.0, v16
	v_div_scale_f32 v18, s[0:1], v16, v16, v19
	v_rcp_f32_e32 v20, v18
	v_div_scale_f32 v21, vcc, v19, v16, v19
	v_fma_f32 v22, -v18, v20, 1.0
	v_fmac_f32_e32 v20, v22, v20
	v_mul_f32_e32 v22, v21, v20
	v_fma_f32 v23, -v18, v22, v21
	v_fmac_f32_e32 v22, v23, v20
	v_fma_f32 v18, -v18, v22, v21
	v_div_fmas_f32 v18, v18, v20, v22
	v_div_fixup_f32 v16, v18, v16, v19
	v_cvt_f16_f32_e32 v16, v16
	v_mov_b32_e32 v23, v17
	s_waitcnt vmcnt(0)
	v_mul_f16_e32 v16, v2, v16
	v_cvt_f32_f16_e32 v16, v16
	v_mul_f32_e32 v16, v10, v16
	v_min_f32_e32 v16, 0x43e00000, v16
	v_max_f32_e32 v21, 0xc3e00000, v16
	v_and_b32_sdwa v20, v21, s35 dst_sel:DWORD dst_unused:UNUSED_PAD src0_sel:BYTE_3 src1_sel:DWORD
	v_and_b32_e32 v22, 0x7f800000, v21
	v_and_b32_e32 v16, 0x7fffff, v21
	v_or_b32_e32 v18, 0x7e, v20
	v_cmp_ne_u64_e32 vcc, s[12:13], v[22:23]
	s_and_saveexec_b64 s[0:1], vcc
	s_xor_b64 s[16:17], exec, s[0:1]
	s_cbranch_execz .LBB2_19
; %bb.6:                                ;   in Loop: Header=BB2_5 Depth=1
	v_and_b32_e32 v22, 0x7fffffff, v21
	v_mov_b32_e32 v23, v17
	v_cmp_gt_u64_e32 vcc, s[14:15], v[22:23]
	s_and_saveexec_b64 s[0:1], vcc
	s_xor_b64 s[18:19], exec, s[0:1]
	s_cbranch_execz .LBB2_18
; %bb.7:                                ;   in Loop: Header=BB2_5 Depth=1
	v_cmp_ne_u32_e32 vcc, 0, v21
	v_pk_mov_b32 v[18:19], 0, 0
	s_and_saveexec_b64 s[20:21], vcc
	s_cbranch_execz .LBB2_17
; %bb.8:                                ;   in Loop: Header=BB2_5 Depth=1
	v_bfe_u32 v18, v21, 23, 8
	v_sub_u32_e64 v19, s36, v18 clamp
	v_cmp_eq_u32_e32 vcc, 0, v18
	v_cndmask_b32_e32 v25, v19, v33, vcc
	v_add_u32_e32 v24, 0xffffff88, v18
	v_add_u32_e32 v18, 20, v25
	v_or_b32_e32 v21, 0x800000, v16
	v_lshlrev_b64 v[18:19], v18, -1
	v_cndmask_b32_e32 v16, v21, v16, vcc
	v_not_b32_e32 v19, v19
	v_not_b32_e32 v18, v18
	v_add_u32_e32 v21, 19, v25
	v_and_b32_e32 v19, 0, v19
	v_and_b32_e32 v18, v16, v18
	v_lshlrev_b64 v[22:23], v21, 1
	v_cmp_eq_u64_e64 s[0:1], v[18:19], v[22:23]
	v_lshrrev_b64 v[18:19], v25, v[16:17]
	v_cndmask_b32_e32 v16, v24, v34, vcc
	v_lshrrev_b32_e32 v21, 23, v18
	v_add3_u32 v21, v16, v25, v21
	v_and_b32_e32 v16, 0x100000, v18
	v_cmp_eq_u64_e32 vcc, 0, v[16:17]
	s_and_b64 vcc, vcc, s[0:1]
	v_subbrev_co_u32_e32 v16, vcc, 0, v18, vcc
	v_and_b32_e32 v16, 0xfffff, v16
	v_add_co_u32_e32 v18, vcc, v16, v18
	v_add_u32_e32 v22, -1, v21
	v_addc_co_u32_e32 v19, vcc, 0, v19, vcc
	v_cmp_ne_u32_e32 vcc, 0, v22
                                        ; implicit-def: $vgpr16
	s_and_saveexec_b64 s[0:1], vcc
	s_xor_b64 s[0:1], exec, s[0:1]
; %bb.9:                                ;   in Loop: Header=BB2_5 Depth=1
	v_and_b32_e32 v16, 0x1000000, v18
	v_cmp_eq_u64_e32 vcc, 0, v[16:17]
	v_cndmask_b32_e32 v16, v21, v22, vcc
	v_bfe_u32 v21, v18, 24, 1
	v_lshrrev_b64 v[18:19], v21, v[18:19]
; %bb.10:                               ;   in Loop: Header=BB2_5 Depth=1
	s_andn2_saveexec_b64 s[0:1], s[0:1]
; %bb.11:                               ;   in Loop: Header=BB2_5 Depth=1
	v_bfe_u32 v16, v18, 23, 1
; %bb.12:                               ;   in Loop: Header=BB2_5 Depth=1
	s_or_b64 exec, exec, s[0:1]
	v_lshrrev_b64 v[18:19], 20, v[18:19]
	v_cmp_gt_i32_e32 vcc, 16, v16
	v_cndmask_b32_e32 v23, 0, v19, vcc
	v_cndmask_b32_e32 v22, 7, v18, vcc
	v_cmp_ne_u32_e32 vcc, 0, v16
	v_cmp_ne_u64_e64 s[0:1], 0, v[22:23]
	s_or_b64 s[0:1], vcc, s[0:1]
                                        ; implicit-def: $vgpr18_vgpr19
	s_and_saveexec_b64 s[40:41], s[0:1]
	s_xor_b64 s[0:1], exec, s[40:41]
; %bb.13:                               ;   in Loop: Header=BB2_5 Depth=1
	v_min_i32_e32 v16, 15, v16
	v_lshl_or_b32 v16, v16, 3, v20
	v_and_or_b32 v18, v22, 7, v16
                                        ; implicit-def: $vgpr20
; %bb.14:                               ;   in Loop: Header=BB2_5 Depth=1
	s_andn2_saveexec_b64 s[0:1], s[0:1]
; %bb.15:                               ;   in Loop: Header=BB2_5 Depth=1
	v_pk_mov_b32 v[18:19], v[20:21], v[20:21] op_sel:[0,1]
; %bb.16:                               ;   in Loop: Header=BB2_5 Depth=1
	s_or_b64 exec, exec, s[0:1]
.LBB2_17:                               ;   in Loop: Header=BB2_5 Depth=1
	s_or_b64 exec, exec, s[20:21]
.LBB2_18:                               ;   in Loop: Header=BB2_5 Depth=1
	s_andn2_saveexec_b64 s[0:1], s[18:19]
	s_or_b64 exec, exec, s[0:1]
                                        ; implicit-def: $vgpr21
.LBB2_19:                               ;   in Loop: Header=BB2_5 Depth=1
	s_andn2_saveexec_b64 s[0:1], s[16:17]
; %bb.20:                               ;   in Loop: Header=BB2_5 Depth=1
	v_or_b32_sdwa v19, v21, s37 dst_sel:DWORD dst_unused:UNUSED_PAD src0_sel:BYTE_3 src1_sel:DWORD
	v_cmp_eq_u64_e32 vcc, 0, v[16:17]
	v_cndmask_b32_e32 v18, v19, v18, vcc
; %bb.21:                               ;   in Loop: Header=BB2_5 Depth=1
	s_or_b64 exec, exec, s[0:1]
	v_cvt_f32_f16_sdwa v16, -v6 dst_sel:DWORD dst_unused:UNUSED_PAD src0_sel:WORD_1
	v_mul_f32_e32 v19, 0x3fb8aa3b, v16
	v_rndne_f32_e32 v20, v19
	v_fma_mix_f32 v21, -v6, s9, -v19 op_sel:[1,0,0] op_sel_hi:[1,0,0]
	v_sub_f32_e32 v19, v19, v20
	v_fma_mix_f32 v21, -v6, s31, v21 op_sel:[1,0,0] op_sel_hi:[1,0,0]
	v_add_f32_e32 v19, v19, v21
	v_cvt_i32_f32_e32 v20, v20
	v_exp_f32_e32 v19, v19
	v_cvt_f32_f16_sdwa v6, v6 dst_sel:DWORD dst_unused:UNUSED_PAD src0_sel:WORD_1
	v_cmp_ngt_f32_e32 vcc, s33, v16
	v_ldexp_f32 v19, v19, v20
	v_cndmask_b32_e32 v19, 0, v19, vcc
	v_cmp_nlt_f32_e32 vcc, s34, v16
	v_cndmask_b32_e32 v16, v32, v19, vcc
	v_add_f32_e32 v16, 1.0, v16
	v_div_scale_f32 v19, s[0:1], v16, v16, v6
	v_rcp_f32_e32 v20, v19
	v_div_scale_f32 v21, vcc, v6, v16, v6
	v_fma_f32 v22, -v19, v20, 1.0
	v_fmac_f32_e32 v20, v22, v20
	v_mul_f32_e32 v22, v21, v20
	v_fma_f32 v23, -v19, v22, v21
	v_fmac_f32_e32 v22, v23, v20
	v_fma_f32 v19, -v19, v22, v21
	v_div_fmas_f32 v19, v19, v20, v22
	v_div_fixup_f32 v6, v19, v16, v6
	v_cvt_f16_f32_e32 v6, v6
	v_mov_b32_e32 v23, v17
	v_mul_f16_sdwa v2, v2, v6 dst_sel:DWORD dst_unused:UNUSED_PAD src0_sel:WORD_1 src1_sel:DWORD
	v_cvt_f32_f16_e32 v2, v2
	v_mul_f32_e32 v2, v10, v2
	v_min_f32_e32 v2, 0x43e00000, v2
	v_max_f32_e32 v6, 0xc3e00000, v2
	v_and_b32_sdwa v2, v6, s35 dst_sel:DWORD dst_unused:UNUSED_PAD src0_sel:BYTE_3 src1_sel:DWORD
	v_and_b32_e32 v22, 0x7f800000, v6
	v_and_b32_e32 v16, 0x7fffff, v6
	v_or_b32_e32 v20, 0x7e, v2
	v_cmp_ne_u64_e32 vcc, s[12:13], v[22:23]
	s_and_saveexec_b64 s[0:1], vcc
	s_xor_b64 s[16:17], exec, s[0:1]
	s_cbranch_execz .LBB2_35
; %bb.22:                               ;   in Loop: Header=BB2_5 Depth=1
	v_and_b32_e32 v22, 0x7fffffff, v6
	v_mov_b32_e32 v23, v17
	v_cmp_gt_u64_e32 vcc, s[14:15], v[22:23]
	s_and_saveexec_b64 s[0:1], vcc
	s_xor_b64 s[18:19], exec, s[0:1]
	s_cbranch_execz .LBB2_34
; %bb.23:                               ;   in Loop: Header=BB2_5 Depth=1
	v_cmp_ne_u32_e32 vcc, 0, v6
	v_pk_mov_b32 v[20:21], 0, 0
	s_and_saveexec_b64 s[20:21], vcc
	s_cbranch_execz .LBB2_33
; %bb.24:                               ;   in Loop: Header=BB2_5 Depth=1
	v_bfe_u32 v6, v6, 23, 8
	v_sub_u32_e64 v19, s36, v6 clamp
	v_cmp_eq_u32_e32 vcc, 0, v6
	v_add_u32_e32 v24, 0xffffff88, v6
	v_cndmask_b32_e32 v6, v19, v33, vcc
	v_or_b32_e32 v20, 0x800000, v16
	v_add_u32_e32 v19, 20, v6
	v_cndmask_b32_e32 v16, v20, v16, vcc
	v_lshlrev_b64 v[20:21], v19, -1
	v_not_b32_e32 v19, v21
	v_not_b32_e32 v20, v20
	v_and_b32_e32 v21, 0, v19
	v_add_u32_e32 v19, 19, v6
	v_and_b32_e32 v20, v16, v20
	v_lshlrev_b64 v[22:23], v19, 1
	v_cmp_eq_u64_e64 s[0:1], v[20:21], v[22:23]
	v_lshrrev_b64 v[20:21], v6, v[16:17]
	v_cndmask_b32_e32 v16, v24, v34, vcc
	v_lshrrev_b32_e32 v19, 23, v20
	v_add3_u32 v19, v16, v6, v19
	v_and_b32_e32 v16, 0x100000, v20
	v_cmp_eq_u64_e32 vcc, 0, v[16:17]
	s_and_b64 vcc, vcc, s[0:1]
	v_subbrev_co_u32_e32 v6, vcc, 0, v20, vcc
	v_and_b32_e32 v6, 0xfffff, v6
	v_add_co_u32_e32 v20, vcc, v6, v20
	v_add_u32_e32 v22, -1, v19
	v_addc_co_u32_e32 v21, vcc, 0, v21, vcc
	v_cmp_ne_u32_e32 vcc, 0, v22
                                        ; implicit-def: $vgpr6
	s_and_saveexec_b64 s[0:1], vcc
	s_xor_b64 s[0:1], exec, s[0:1]
; %bb.25:                               ;   in Loop: Header=BB2_5 Depth=1
	v_and_b32_e32 v16, 0x1000000, v20
	v_cmp_eq_u64_e32 vcc, 0, v[16:17]
	v_bfe_u32 v16, v20, 24, 1
	v_cndmask_b32_e32 v6, v19, v22, vcc
	v_lshrrev_b64 v[20:21], v16, v[20:21]
; %bb.26:                               ;   in Loop: Header=BB2_5 Depth=1
	s_andn2_saveexec_b64 s[0:1], s[0:1]
; %bb.27:                               ;   in Loop: Header=BB2_5 Depth=1
	v_bfe_u32 v6, v20, 23, 1
; %bb.28:                               ;   in Loop: Header=BB2_5 Depth=1
	s_or_b64 exec, exec, s[0:1]
	v_lshrrev_b64 v[20:21], 20, v[20:21]
	v_cmp_gt_i32_e32 vcc, 16, v6
	v_cndmask_b32_e32 v23, 0, v21, vcc
	v_cndmask_b32_e32 v22, 7, v20, vcc
	v_cmp_ne_u32_e32 vcc, 0, v6
	v_cmp_ne_u64_e64 s[0:1], 0, v[22:23]
	s_or_b64 s[0:1], vcc, s[0:1]
                                        ; implicit-def: $vgpr20_vgpr21
	s_and_saveexec_b64 s[40:41], s[0:1]
	s_xor_b64 s[0:1], exec, s[40:41]
; %bb.29:                               ;   in Loop: Header=BB2_5 Depth=1
	v_min_i32_e32 v6, 15, v6
	v_lshl_or_b32 v2, v6, 3, v2
	v_and_or_b32 v20, v22, 7, v2
                                        ; implicit-def: $vgpr2
; %bb.30:                               ;   in Loop: Header=BB2_5 Depth=1
	s_andn2_saveexec_b64 s[0:1], s[0:1]
; %bb.31:                               ;   in Loop: Header=BB2_5 Depth=1
	v_pk_mov_b32 v[20:21], v[2:3], v[2:3] op_sel:[0,1]
; %bb.32:                               ;   in Loop: Header=BB2_5 Depth=1
	s_or_b64 exec, exec, s[0:1]
.LBB2_33:                               ;   in Loop: Header=BB2_5 Depth=1
	s_or_b64 exec, exec, s[20:21]
.LBB2_34:                               ;   in Loop: Header=BB2_5 Depth=1
	s_andn2_saveexec_b64 s[0:1], s[18:19]
	s_or_b64 exec, exec, s[0:1]
                                        ; implicit-def: $vgpr6
.LBB2_35:                               ;   in Loop: Header=BB2_5 Depth=1
	s_andn2_saveexec_b64 s[0:1], s[16:17]
; %bb.36:                               ;   in Loop: Header=BB2_5 Depth=1
	v_or_b32_sdwa v2, v6, s37 dst_sel:DWORD dst_unused:UNUSED_PAD src0_sel:BYTE_3 src1_sel:DWORD
	v_cmp_eq_u64_e32 vcc, 0, v[16:17]
	v_cndmask_b32_e32 v20, v2, v20, vcc
; %bb.37:                               ;   in Loop: Header=BB2_5 Depth=1
	s_or_b64 exec, exec, s[0:1]
	v_cvt_f32_f16_e64 v2, -v7
	v_mov_b32_e32 v25, v17
	v_mul_f32_e32 v6, 0x3fb8aa3b, v2
	v_rndne_f32_e32 v16, v6
	v_fma_mix_f32 v19, -v7, s9, -v6 op_sel_hi:[1,0,0]
	v_sub_f32_e32 v6, v6, v16
	v_fma_mix_f32 v19, -v7, s31, v19 op_sel_hi:[1,0,0]
	v_add_f32_e32 v6, v6, v19
	v_cvt_i32_f32_e32 v16, v16
	v_exp_f32_e32 v6, v6
	v_cvt_f32_f16_e32 v19, v7
	v_cmp_ngt_f32_e32 vcc, s33, v2
	v_ldexp_f32 v6, v6, v16
	v_cndmask_b32_e32 v6, 0, v6, vcc
	v_cmp_nlt_f32_e32 vcc, s34, v2
	v_cndmask_b32_e32 v2, v32, v6, vcc
	v_add_f32_e32 v2, 1.0, v2
	v_div_scale_f32 v6, s[0:1], v2, v2, v19
	v_rcp_f32_e32 v16, v6
	v_div_scale_f32 v21, vcc, v19, v2, v19
	v_fma_f32 v22, -v6, v16, 1.0
	v_fmac_f32_e32 v16, v22, v16
	v_mul_f32_e32 v22, v21, v16
	v_fma_f32 v23, -v6, v22, v21
	v_fmac_f32_e32 v22, v23, v16
	v_fma_f32 v6, -v6, v22, v21
	v_div_fmas_f32 v6, v6, v16, v22
	v_div_fixup_f32 v2, v6, v2, v19
	v_cvt_f16_f32_e32 v2, v2
	v_mul_f16_e32 v2, v3, v2
	v_cvt_f32_f16_e32 v2, v2
	v_mul_f32_e32 v2, v10, v2
	v_min_f32_e32 v2, 0x43e00000, v2
	v_max_f32_e32 v6, 0xc3e00000, v2
	v_and_b32_sdwa v2, v6, s35 dst_sel:DWORD dst_unused:UNUSED_PAD src0_sel:BYTE_3 src1_sel:DWORD
	v_and_b32_e32 v24, 0x7f800000, v6
	v_and_b32_e32 v16, 0x7fffff, v6
	v_or_b32_e32 v22, 0x7e, v2
	v_cmp_ne_u64_e32 vcc, s[12:13], v[24:25]
	s_and_saveexec_b64 s[0:1], vcc
	s_xor_b64 s[16:17], exec, s[0:1]
	s_cbranch_execz .LBB2_51
; %bb.38:                               ;   in Loop: Header=BB2_5 Depth=1
	v_and_b32_e32 v24, 0x7fffffff, v6
	v_mov_b32_e32 v25, v17
	v_cmp_gt_u64_e32 vcc, s[14:15], v[24:25]
	s_and_saveexec_b64 s[0:1], vcc
	s_xor_b64 s[18:19], exec, s[0:1]
	s_cbranch_execz .LBB2_50
; %bb.39:                               ;   in Loop: Header=BB2_5 Depth=1
	v_cmp_ne_u32_e32 vcc, 0, v6
	v_pk_mov_b32 v[22:23], 0, 0
	s_and_saveexec_b64 s[20:21], vcc
	s_cbranch_execz .LBB2_49
; %bb.40:                               ;   in Loop: Header=BB2_5 Depth=1
	v_bfe_u32 v6, v6, 23, 8
	v_sub_u32_e64 v19, s36, v6 clamp
	v_cmp_eq_u32_e32 vcc, 0, v6
	v_add_u32_e32 v26, 0xffffff88, v6
	v_cndmask_b32_e32 v6, v19, v33, vcc
	v_add_u32_e32 v19, 20, v6
	v_lshlrev_b64 v[22:23], v19, -1
	v_or_b32_e32 v21, 0x800000, v16
	v_not_b32_e32 v19, v23
	v_cndmask_b32_e32 v16, v21, v16, vcc
	v_not_b32_e32 v21, v22
	v_and_b32_e32 v23, 0, v19
	v_add_u32_e32 v19, 19, v6
	v_and_b32_e32 v22, v16, v21
	v_lshlrev_b64 v[24:25], v19, 1
	v_cmp_eq_u64_e64 s[0:1], v[22:23], v[24:25]
	v_lshrrev_b64 v[22:23], v6, v[16:17]
	v_cndmask_b32_e32 v16, v26, v34, vcc
	v_lshrrev_b32_e32 v19, 23, v22
	v_add3_u32 v19, v16, v6, v19
	v_and_b32_e32 v16, 0x100000, v22
	v_cmp_eq_u64_e32 vcc, 0, v[16:17]
	s_and_b64 vcc, vcc, s[0:1]
	v_subbrev_co_u32_e32 v6, vcc, 0, v22, vcc
	v_and_b32_e32 v6, 0xfffff, v6
	v_add_co_u32_e32 v22, vcc, v6, v22
	v_add_u32_e32 v21, -1, v19
	v_addc_co_u32_e32 v23, vcc, 0, v23, vcc
	v_cmp_ne_u32_e32 vcc, 0, v21
                                        ; implicit-def: $vgpr6
	s_and_saveexec_b64 s[0:1], vcc
	s_xor_b64 s[0:1], exec, s[0:1]
; %bb.41:                               ;   in Loop: Header=BB2_5 Depth=1
	v_and_b32_e32 v16, 0x1000000, v22
	v_cmp_eq_u64_e32 vcc, 0, v[16:17]
	v_bfe_u32 v16, v22, 24, 1
	v_cndmask_b32_e32 v6, v19, v21, vcc
	v_lshrrev_b64 v[22:23], v16, v[22:23]
; %bb.42:                               ;   in Loop: Header=BB2_5 Depth=1
	s_andn2_saveexec_b64 s[0:1], s[0:1]
; %bb.43:                               ;   in Loop: Header=BB2_5 Depth=1
	v_bfe_u32 v6, v22, 23, 1
; %bb.44:                               ;   in Loop: Header=BB2_5 Depth=1
	s_or_b64 exec, exec, s[0:1]
	v_lshrrev_b64 v[22:23], 20, v[22:23]
	v_cmp_gt_i32_e32 vcc, 16, v6
	v_cndmask_b32_e32 v25, 0, v23, vcc
	v_cndmask_b32_e32 v24, 7, v22, vcc
	v_cmp_ne_u32_e32 vcc, 0, v6
	v_cmp_ne_u64_e64 s[0:1], 0, v[24:25]
	s_or_b64 s[0:1], vcc, s[0:1]
                                        ; implicit-def: $vgpr22_vgpr23
	s_and_saveexec_b64 s[40:41], s[0:1]
	s_xor_b64 s[0:1], exec, s[40:41]
; %bb.45:                               ;   in Loop: Header=BB2_5 Depth=1
	v_min_i32_e32 v6, 15, v6
	v_lshl_or_b32 v2, v6, 3, v2
	v_and_or_b32 v22, v24, 7, v2
                                        ; implicit-def: $vgpr2
; %bb.46:                               ;   in Loop: Header=BB2_5 Depth=1
	s_andn2_saveexec_b64 s[0:1], s[0:1]
; %bb.47:                               ;   in Loop: Header=BB2_5 Depth=1
	v_pk_mov_b32 v[22:23], v[2:3], v[2:3] op_sel:[0,1]
; %bb.48:                               ;   in Loop: Header=BB2_5 Depth=1
	s_or_b64 exec, exec, s[0:1]
.LBB2_49:                               ;   in Loop: Header=BB2_5 Depth=1
	s_or_b64 exec, exec, s[20:21]
.LBB2_50:                               ;   in Loop: Header=BB2_5 Depth=1
	s_andn2_saveexec_b64 s[0:1], s[18:19]
	s_or_b64 exec, exec, s[0:1]
                                        ; implicit-def: $vgpr6
.LBB2_51:                               ;   in Loop: Header=BB2_5 Depth=1
	s_andn2_saveexec_b64 s[0:1], s[16:17]
; %bb.52:                               ;   in Loop: Header=BB2_5 Depth=1
	v_or_b32_sdwa v2, v6, s37 dst_sel:DWORD dst_unused:UNUSED_PAD src0_sel:BYTE_3 src1_sel:DWORD
	v_cmp_eq_u64_e32 vcc, 0, v[16:17]
	v_cndmask_b32_e32 v22, v2, v22, vcc
; %bb.53:                               ;   in Loop: Header=BB2_5 Depth=1
	s_or_b64 exec, exec, s[0:1]
	v_cvt_f32_f16_sdwa v2, -v7 dst_sel:DWORD dst_unused:UNUSED_PAD src0_sel:WORD_1
	v_mov_b32_e32 v25, v17
	v_mul_f32_e32 v6, 0x3fb8aa3b, v2
	v_rndne_f32_e32 v16, v6
	v_fma_mix_f32 v19, -v7, s9, -v6 op_sel:[1,0,0] op_sel_hi:[1,0,0]
	v_sub_f32_e32 v6, v6, v16
	v_fma_mix_f32 v19, -v7, s31, v19 op_sel:[1,0,0] op_sel_hi:[1,0,0]
	v_add_f32_e32 v6, v6, v19
	v_cvt_i32_f32_e32 v16, v16
	v_exp_f32_e32 v6, v6
	v_cvt_f32_f16_sdwa v7, v7 dst_sel:DWORD dst_unused:UNUSED_PAD src0_sel:WORD_1
	v_cmp_ngt_f32_e32 vcc, s33, v2
	v_ldexp_f32 v6, v6, v16
	v_cndmask_b32_e32 v6, 0, v6, vcc
	v_cmp_nlt_f32_e32 vcc, s34, v2
	v_cndmask_b32_e32 v2, v32, v6, vcc
	v_add_f32_e32 v2, 1.0, v2
	v_div_scale_f32 v6, s[0:1], v2, v2, v7
	v_rcp_f32_e32 v16, v6
	v_div_scale_f32 v19, vcc, v7, v2, v7
	v_fma_f32 v21, -v6, v16, 1.0
	v_fmac_f32_e32 v16, v21, v16
	v_mul_f32_e32 v21, v19, v16
	v_fma_f32 v23, -v6, v21, v19
	v_fmac_f32_e32 v21, v23, v16
	v_fma_f32 v6, -v6, v21, v19
	v_div_fmas_f32 v6, v6, v16, v21
	v_div_fixup_f32 v2, v6, v2, v7
	v_cvt_f16_f32_e32 v2, v2
	v_mul_f16_sdwa v2, v3, v2 dst_sel:DWORD dst_unused:UNUSED_PAD src0_sel:WORD_1 src1_sel:DWORD
	v_cvt_f32_f16_e32 v2, v2
	v_mul_f32_e32 v2, v10, v2
	v_min_f32_e32 v2, 0x43e00000, v2
	v_max_f32_e32 v7, 0xc3e00000, v2
	v_and_b32_sdwa v6, v7, s35 dst_sel:DWORD dst_unused:UNUSED_PAD src0_sel:BYTE_3 src1_sel:DWORD
	v_and_b32_e32 v24, 0x7f800000, v7
	v_and_b32_e32 v16, 0x7fffff, v7
	v_or_b32_e32 v2, 0x7e, v6
	v_cmp_ne_u64_e32 vcc, s[12:13], v[24:25]
	s_and_saveexec_b64 s[0:1], vcc
	s_xor_b64 s[16:17], exec, s[0:1]
	s_cbranch_execz .LBB2_67
; %bb.54:                               ;   in Loop: Header=BB2_5 Depth=1
	v_and_b32_e32 v24, 0x7fffffff, v7
	v_mov_b32_e32 v25, v17
	v_cmp_gt_u64_e32 vcc, s[14:15], v[24:25]
	s_and_saveexec_b64 s[0:1], vcc
	s_xor_b64 s[18:19], exec, s[0:1]
	s_cbranch_execz .LBB2_66
; %bb.55:                               ;   in Loop: Header=BB2_5 Depth=1
	v_cmp_ne_u32_e32 vcc, 0, v7
	v_pk_mov_b32 v[2:3], 0, 0
	s_and_saveexec_b64 s[20:21], vcc
	s_cbranch_execz .LBB2_65
; %bb.56:                               ;   in Loop: Header=BB2_5 Depth=1
	v_bfe_u32 v2, v7, 23, 8
	v_sub_u32_e64 v3, s36, v2 clamp
	v_cmp_eq_u32_e32 vcc, 0, v2
	v_cndmask_b32_e32 v21, v3, v33, vcc
	v_add_u32_e32 v19, 0xffffff88, v2
	v_add_u32_e32 v2, 20, v21
	v_or_b32_e32 v7, 0x800000, v16
	v_lshlrev_b64 v[2:3], v2, -1
	v_cndmask_b32_e32 v16, v7, v16, vcc
	v_not_b32_e32 v3, v3
	v_not_b32_e32 v2, v2
	v_add_u32_e32 v7, 19, v21
	v_and_b32_e32 v3, 0, v3
	v_and_b32_e32 v2, v16, v2
	v_lshlrev_b64 v[24:25], v7, 1
	v_cmp_eq_u64_e64 s[0:1], v[2:3], v[24:25]
	v_lshrrev_b64 v[2:3], v21, v[16:17]
	v_cndmask_b32_e32 v7, v19, v34, vcc
	v_lshrrev_b32_e32 v16, 23, v2
	v_add3_u32 v19, v7, v21, v16
	v_and_b32_e32 v16, 0x100000, v2
	v_cmp_eq_u64_e32 vcc, 0, v[16:17]
	s_and_b64 vcc, vcc, s[0:1]
	v_subbrev_co_u32_e32 v7, vcc, 0, v2, vcc
	v_and_b32_e32 v7, 0xfffff, v7
	v_add_co_u32_e32 v2, vcc, v7, v2
	v_add_u32_e32 v21, -1, v19
	v_addc_co_u32_e32 v3, vcc, 0, v3, vcc
	v_cmp_ne_u32_e32 vcc, 0, v21
                                        ; implicit-def: $vgpr7
	s_and_saveexec_b64 s[0:1], vcc
	s_xor_b64 s[0:1], exec, s[0:1]
; %bb.57:                               ;   in Loop: Header=BB2_5 Depth=1
	v_and_b32_e32 v16, 0x1000000, v2
	v_cmp_eq_u64_e32 vcc, 0, v[16:17]
	v_bfe_u32 v16, v2, 24, 1
	v_cndmask_b32_e32 v7, v19, v21, vcc
	v_lshrrev_b64 v[2:3], v16, v[2:3]
; %bb.58:                               ;   in Loop: Header=BB2_5 Depth=1
	s_andn2_saveexec_b64 s[0:1], s[0:1]
; %bb.59:                               ;   in Loop: Header=BB2_5 Depth=1
	v_bfe_u32 v7, v2, 23, 1
; %bb.60:                               ;   in Loop: Header=BB2_5 Depth=1
	s_or_b64 exec, exec, s[0:1]
	v_lshrrev_b64 v[2:3], 20, v[2:3]
	v_cmp_gt_i32_e32 vcc, 16, v7
	v_cndmask_b32_e32 v25, 0, v3, vcc
	v_cndmask_b32_e32 v24, 7, v2, vcc
	v_cmp_ne_u32_e32 vcc, 0, v7
	v_cmp_ne_u64_e64 s[0:1], 0, v[24:25]
	s_or_b64 s[0:1], vcc, s[0:1]
                                        ; implicit-def: $vgpr2_vgpr3
	s_and_saveexec_b64 s[40:41], s[0:1]
	s_xor_b64 s[0:1], exec, s[40:41]
; %bb.61:                               ;   in Loop: Header=BB2_5 Depth=1
	v_min_i32_e32 v2, 15, v7
	v_lshl_or_b32 v2, v2, 3, v6
	v_and_or_b32 v2, v24, 7, v2
                                        ; implicit-def: $vgpr6
; %bb.62:                               ;   in Loop: Header=BB2_5 Depth=1
	s_andn2_saveexec_b64 s[0:1], s[0:1]
; %bb.63:                               ;   in Loop: Header=BB2_5 Depth=1
	v_pk_mov_b32 v[2:3], v[6:7], v[6:7] op_sel:[0,1]
; %bb.64:                               ;   in Loop: Header=BB2_5 Depth=1
	s_or_b64 exec, exec, s[0:1]
.LBB2_65:                               ;   in Loop: Header=BB2_5 Depth=1
	s_or_b64 exec, exec, s[20:21]
.LBB2_66:                               ;   in Loop: Header=BB2_5 Depth=1
	s_andn2_saveexec_b64 s[0:1], s[18:19]
	s_or_b64 exec, exec, s[0:1]
                                        ; implicit-def: $vgpr7
.LBB2_67:                               ;   in Loop: Header=BB2_5 Depth=1
	s_andn2_saveexec_b64 s[0:1], s[16:17]
; %bb.68:                               ;   in Loop: Header=BB2_5 Depth=1
	v_or_b32_sdwa v3, v7, s37 dst_sel:DWORD dst_unused:UNUSED_PAD src0_sel:BYTE_3 src1_sel:DWORD
	v_cmp_eq_u64_e32 vcc, 0, v[16:17]
	v_cndmask_b32_e32 v2, v3, v2, vcc
; %bb.69:                               ;   in Loop: Header=BB2_5 Depth=1
	s_or_b64 exec, exec, s[0:1]
	v_cvt_f32_f16_e64 v3, -v8
	v_mov_b32_e32 v27, v17
	v_mul_f32_e32 v6, 0x3fb8aa3b, v3
	v_rndne_f32_e32 v7, v6
	v_fma_mix_f32 v16, -v8, s9, -v6 op_sel_hi:[1,0,0]
	v_sub_f32_e32 v6, v6, v7
	v_fma_mix_f32 v16, -v8, s31, v16 op_sel_hi:[1,0,0]
	v_add_f32_e32 v6, v6, v16
	v_cvt_i32_f32_e32 v7, v7
	v_exp_f32_e32 v6, v6
	v_cvt_f32_f16_e32 v16, v8
	v_cmp_ngt_f32_e32 vcc, s33, v3
	v_ldexp_f32 v6, v6, v7
	v_cndmask_b32_e32 v6, 0, v6, vcc
	v_cmp_nlt_f32_e32 vcc, s34, v3
	v_cndmask_b32_e32 v3, v32, v6, vcc
	v_add_f32_e32 v3, 1.0, v3
	v_div_scale_f32 v6, s[0:1], v3, v3, v16
	v_rcp_f32_e32 v7, v6
	v_div_scale_f32 v19, vcc, v16, v3, v16
	v_fma_f32 v21, -v6, v7, 1.0
	v_fmac_f32_e32 v7, v21, v7
	v_mul_f32_e32 v21, v19, v7
	v_fma_f32 v23, -v6, v21, v19
	v_fmac_f32_e32 v21, v23, v7
	v_fma_f32 v6, -v6, v21, v19
	v_div_fmas_f32 v6, v6, v7, v21
	v_div_fixup_f32 v3, v6, v3, v16
	v_cvt_f16_f32_e32 v3, v3
	v_mul_f16_e32 v3, v4, v3
	v_cvt_f32_f16_e32 v3, v3
	v_mul_f32_e32 v3, v10, v3
	v_min_f32_e32 v3, 0x43e00000, v3
	v_max_f32_e32 v3, 0xc3e00000, v3
	v_and_b32_sdwa v24, v3, s35 dst_sel:DWORD dst_unused:UNUSED_PAD src0_sel:BYTE_3 src1_sel:DWORD
	v_and_b32_e32 v26, 0x7f800000, v3
	v_and_b32_e32 v16, 0x7fffff, v3
	v_or_b32_e32 v6, 0x7e, v24
	v_cmp_ne_u64_e32 vcc, s[12:13], v[26:27]
	s_and_saveexec_b64 s[0:1], vcc
	s_xor_b64 s[16:17], exec, s[0:1]
	s_cbranch_execz .LBB2_83
; %bb.70:                               ;   in Loop: Header=BB2_5 Depth=1
	v_and_b32_e32 v26, 0x7fffffff, v3
	v_mov_b32_e32 v27, v17
	v_cmp_gt_u64_e32 vcc, s[14:15], v[26:27]
	s_and_saveexec_b64 s[0:1], vcc
	s_xor_b64 s[18:19], exec, s[0:1]
	s_cbranch_execz .LBB2_82
; %bb.71:                               ;   in Loop: Header=BB2_5 Depth=1
	v_cmp_ne_u32_e32 vcc, 0, v3
	v_pk_mov_b32 v[6:7], 0, 0
	s_and_saveexec_b64 s[20:21], vcc
	s_cbranch_execz .LBB2_81
; %bb.72:                               ;   in Loop: Header=BB2_5 Depth=1
	v_bfe_u32 v3, v3, 23, 8
	v_sub_u32_e64 v6, s36, v3 clamp
	v_cmp_eq_u32_e32 vcc, 0, v3
	v_add_u32_e32 v19, 0xffffff88, v3
	v_cndmask_b32_e32 v3, v6, v33, vcc
	v_or_b32_e32 v7, 0x800000, v16
	v_add_u32_e32 v6, 20, v3
	v_cndmask_b32_e32 v16, v7, v16, vcc
	v_lshlrev_b64 v[6:7], v6, -1
	v_not_b32_e32 v7, v7
	v_not_b32_e32 v6, v6
	v_add_u32_e32 v21, 19, v3
	v_and_b32_e32 v7, 0, v7
	v_and_b32_e32 v6, v16, v6
	v_lshlrev_b64 v[26:27], v21, 1
	v_cmp_eq_u64_e64 s[0:1], v[6:7], v[26:27]
	v_lshrrev_b64 v[6:7], v3, v[16:17]
	v_cndmask_b32_e32 v16, v19, v34, vcc
	v_lshrrev_b32_e32 v19, 23, v6
	v_add3_u32 v19, v16, v3, v19
	v_and_b32_e32 v16, 0x100000, v6
	v_cmp_eq_u64_e32 vcc, 0, v[16:17]
	s_and_b64 vcc, vcc, s[0:1]
	v_subbrev_co_u32_e32 v3, vcc, 0, v6, vcc
	v_and_b32_e32 v3, 0xfffff, v3
	v_add_co_u32_e32 v6, vcc, v3, v6
	v_add_u32_e32 v21, -1, v19
	v_addc_co_u32_e32 v7, vcc, 0, v7, vcc
	v_cmp_ne_u32_e32 vcc, 0, v21
                                        ; implicit-def: $vgpr3
	s_and_saveexec_b64 s[0:1], vcc
	s_xor_b64 s[0:1], exec, s[0:1]
; %bb.73:                               ;   in Loop: Header=BB2_5 Depth=1
	v_and_b32_e32 v16, 0x1000000, v6
	v_cmp_eq_u64_e32 vcc, 0, v[16:17]
	v_bfe_u32 v16, v6, 24, 1
	v_cndmask_b32_e32 v3, v19, v21, vcc
	v_lshrrev_b64 v[6:7], v16, v[6:7]
; %bb.74:                               ;   in Loop: Header=BB2_5 Depth=1
	s_andn2_saveexec_b64 s[0:1], s[0:1]
; %bb.75:                               ;   in Loop: Header=BB2_5 Depth=1
	v_bfe_u32 v3, v6, 23, 1
; %bb.76:                               ;   in Loop: Header=BB2_5 Depth=1
	s_or_b64 exec, exec, s[0:1]
	v_lshrrev_b64 v[6:7], 20, v[6:7]
	v_cmp_gt_i32_e32 vcc, 16, v3
	v_cndmask_b32_e32 v27, 0, v7, vcc
	v_cndmask_b32_e32 v26, 7, v6, vcc
	v_cmp_ne_u32_e32 vcc, 0, v3
	v_cmp_ne_u64_e64 s[0:1], 0, v[26:27]
	s_or_b64 s[0:1], vcc, s[0:1]
                                        ; implicit-def: $vgpr6_vgpr7
	s_and_saveexec_b64 s[40:41], s[0:1]
	s_xor_b64 s[0:1], exec, s[40:41]
; %bb.77:                               ;   in Loop: Header=BB2_5 Depth=1
	v_min_i32_e32 v3, 15, v3
	v_lshl_or_b32 v3, v3, 3, v24
	v_and_or_b32 v6, v26, 7, v3
                                        ; implicit-def: $vgpr24
; %bb.78:                               ;   in Loop: Header=BB2_5 Depth=1
	s_andn2_saveexec_b64 s[0:1], s[0:1]
; %bb.79:                               ;   in Loop: Header=BB2_5 Depth=1
	v_pk_mov_b32 v[6:7], v[24:25], v[24:25] op_sel:[0,1]
; %bb.80:                               ;   in Loop: Header=BB2_5 Depth=1
	s_or_b64 exec, exec, s[0:1]
.LBB2_81:                               ;   in Loop: Header=BB2_5 Depth=1
	s_or_b64 exec, exec, s[20:21]
.LBB2_82:                               ;   in Loop: Header=BB2_5 Depth=1
	s_andn2_saveexec_b64 s[0:1], s[18:19]
	s_or_b64 exec, exec, s[0:1]
                                        ; implicit-def: $vgpr3
.LBB2_83:                               ;   in Loop: Header=BB2_5 Depth=1
	s_andn2_saveexec_b64 s[0:1], s[16:17]
; %bb.84:                               ;   in Loop: Header=BB2_5 Depth=1
	v_or_b32_sdwa v3, v3, s37 dst_sel:DWORD dst_unused:UNUSED_PAD src0_sel:BYTE_3 src1_sel:DWORD
	v_cmp_eq_u64_e32 vcc, 0, v[16:17]
	v_cndmask_b32_e32 v6, v3, v6, vcc
; %bb.85:                               ;   in Loop: Header=BB2_5 Depth=1
	s_or_b64 exec, exec, s[0:1]
	v_cvt_f32_f16_sdwa v3, -v8 dst_sel:DWORD dst_unused:UNUSED_PAD src0_sel:WORD_1
	v_mov_b32_e32 v27, v17
	v_mul_f32_e32 v7, 0x3fb8aa3b, v3
	v_rndne_f32_e32 v16, v7
	v_fma_mix_f32 v19, -v8, s9, -v7 op_sel:[1,0,0] op_sel_hi:[1,0,0]
	v_sub_f32_e32 v7, v7, v16
	v_fma_mix_f32 v19, -v8, s31, v19 op_sel:[1,0,0] op_sel_hi:[1,0,0]
	v_add_f32_e32 v7, v7, v19
	v_cvt_i32_f32_e32 v16, v16
	v_exp_f32_e32 v7, v7
	v_cvt_f32_f16_sdwa v8, v8 dst_sel:DWORD dst_unused:UNUSED_PAD src0_sel:WORD_1
	v_cmp_ngt_f32_e32 vcc, s33, v3
	v_ldexp_f32 v7, v7, v16
	v_cndmask_b32_e32 v7, 0, v7, vcc
	v_cmp_nlt_f32_e32 vcc, s34, v3
	v_cndmask_b32_e32 v3, v32, v7, vcc
	v_add_f32_e32 v3, 1.0, v3
	v_div_scale_f32 v7, s[0:1], v3, v3, v8
	v_rcp_f32_e32 v16, v7
	v_div_scale_f32 v19, vcc, v8, v3, v8
	v_fma_f32 v21, -v7, v16, 1.0
	v_fmac_f32_e32 v16, v21, v16
	v_mul_f32_e32 v21, v19, v16
	v_fma_f32 v23, -v7, v21, v19
	v_fmac_f32_e32 v21, v23, v16
	v_fma_f32 v7, -v7, v21, v19
	v_div_fmas_f32 v7, v7, v16, v21
	v_div_fixup_f32 v3, v7, v3, v8
	v_cvt_f16_f32_e32 v3, v3
	v_mul_f16_sdwa v3, v4, v3 dst_sel:DWORD dst_unused:UNUSED_PAD src0_sel:WORD_1 src1_sel:DWORD
	v_cvt_f32_f16_e32 v3, v3
	v_mul_f32_e32 v3, v10, v3
	v_min_f32_e32 v3, 0x43e00000, v3
	v_max_f32_e32 v3, 0xc3e00000, v3
	v_and_b32_sdwa v4, v3, s35 dst_sel:DWORD dst_unused:UNUSED_PAD src0_sel:BYTE_3 src1_sel:DWORD
	v_and_b32_e32 v26, 0x7f800000, v3
	v_and_b32_e32 v16, 0x7fffff, v3
	v_or_b32_e32 v24, 0x7e, v4
	v_cmp_ne_u64_e32 vcc, s[12:13], v[26:27]
	s_and_saveexec_b64 s[0:1], vcc
	s_xor_b64 s[16:17], exec, s[0:1]
	s_cbranch_execz .LBB2_99
; %bb.86:                               ;   in Loop: Header=BB2_5 Depth=1
	v_and_b32_e32 v26, 0x7fffffff, v3
	v_mov_b32_e32 v27, v17
	v_cmp_gt_u64_e32 vcc, s[14:15], v[26:27]
	s_and_saveexec_b64 s[0:1], vcc
	s_xor_b64 s[18:19], exec, s[0:1]
	s_cbranch_execz .LBB2_98
; %bb.87:                               ;   in Loop: Header=BB2_5 Depth=1
	v_cmp_ne_u32_e32 vcc, 0, v3
	v_pk_mov_b32 v[24:25], 0, 0
	s_and_saveexec_b64 s[20:21], vcc
	s_cbranch_execz .LBB2_97
; %bb.88:                               ;   in Loop: Header=BB2_5 Depth=1
	v_bfe_u32 v3, v3, 23, 8
	v_sub_u32_e64 v7, s36, v3 clamp
	v_cmp_eq_u32_e32 vcc, 0, v3
	v_add_u32_e32 v19, 0xffffff88, v3
	v_cndmask_b32_e32 v3, v7, v33, vcc
	v_add_u32_e32 v7, 20, v3
	v_lshlrev_b64 v[24:25], v7, -1
	v_or_b32_e32 v8, 0x800000, v16
	v_not_b32_e32 v7, v25
	v_cndmask_b32_e32 v16, v8, v16, vcc
	v_not_b32_e32 v8, v24
	v_and_b32_e32 v25, 0, v7
	v_add_u32_e32 v7, 19, v3
	v_and_b32_e32 v24, v16, v8
	v_lshlrev_b64 v[26:27], v7, 1
	v_cmp_eq_u64_e64 s[0:1], v[24:25], v[26:27]
	v_lshrrev_b64 v[24:25], v3, v[16:17]
	v_and_b32_e32 v16, 0x100000, v24
	v_cndmask_b32_e32 v7, v19, v34, vcc
	v_cmp_eq_u64_e32 vcc, 0, v[16:17]
	v_lshrrev_b32_e32 v8, 23, v24
	s_and_b64 vcc, vcc, s[0:1]
	v_add3_u32 v7, v7, v3, v8
	v_subbrev_co_u32_e32 v3, vcc, 0, v24, vcc
	v_and_b32_e32 v3, 0xfffff, v3
	v_add_co_u32_e32 v24, vcc, v3, v24
	v_add_u32_e32 v8, -1, v7
	v_addc_co_u32_e32 v25, vcc, 0, v25, vcc
	v_cmp_ne_u32_e32 vcc, 0, v8
                                        ; implicit-def: $vgpr3
	s_and_saveexec_b64 s[0:1], vcc
	s_xor_b64 s[0:1], exec, s[0:1]
; %bb.89:                               ;   in Loop: Header=BB2_5 Depth=1
	v_and_b32_e32 v16, 0x1000000, v24
	v_cmp_eq_u64_e32 vcc, 0, v[16:17]
	v_cndmask_b32_e32 v3, v7, v8, vcc
	v_bfe_u32 v7, v24, 24, 1
	v_lshrrev_b64 v[24:25], v7, v[24:25]
; %bb.90:                               ;   in Loop: Header=BB2_5 Depth=1
	s_andn2_saveexec_b64 s[0:1], s[0:1]
; %bb.91:                               ;   in Loop: Header=BB2_5 Depth=1
	v_bfe_u32 v3, v24, 23, 1
; %bb.92:                               ;   in Loop: Header=BB2_5 Depth=1
	s_or_b64 exec, exec, s[0:1]
	v_lshrrev_b64 v[24:25], 20, v[24:25]
	v_cmp_gt_i32_e32 vcc, 16, v3
	v_cndmask_b32_e32 v27, 0, v25, vcc
	v_cndmask_b32_e32 v26, 7, v24, vcc
	v_cmp_ne_u32_e32 vcc, 0, v3
	v_cmp_ne_u64_e64 s[0:1], 0, v[26:27]
	s_or_b64 s[0:1], vcc, s[0:1]
                                        ; implicit-def: $vgpr24_vgpr25
	s_and_saveexec_b64 s[40:41], s[0:1]
	s_xor_b64 s[0:1], exec, s[40:41]
; %bb.93:                               ;   in Loop: Header=BB2_5 Depth=1
	v_min_i32_e32 v3, 15, v3
	v_lshl_or_b32 v3, v3, 3, v4
	v_and_or_b32 v24, v26, 7, v3
                                        ; implicit-def: $vgpr4
; %bb.94:                               ;   in Loop: Header=BB2_5 Depth=1
	s_andn2_saveexec_b64 s[0:1], s[0:1]
; %bb.95:                               ;   in Loop: Header=BB2_5 Depth=1
	v_pk_mov_b32 v[24:25], v[4:5], v[4:5] op_sel:[0,1]
; %bb.96:                               ;   in Loop: Header=BB2_5 Depth=1
	s_or_b64 exec, exec, s[0:1]
.LBB2_97:                               ;   in Loop: Header=BB2_5 Depth=1
	s_or_b64 exec, exec, s[20:21]
.LBB2_98:                               ;   in Loop: Header=BB2_5 Depth=1
	s_andn2_saveexec_b64 s[0:1], s[18:19]
	s_or_b64 exec, exec, s[0:1]
                                        ; implicit-def: $vgpr3
.LBB2_99:                               ;   in Loop: Header=BB2_5 Depth=1
	s_andn2_saveexec_b64 s[0:1], s[16:17]
; %bb.100:                              ;   in Loop: Header=BB2_5 Depth=1
	v_or_b32_sdwa v3, v3, s37 dst_sel:DWORD dst_unused:UNUSED_PAD src0_sel:BYTE_3 src1_sel:DWORD
	v_cmp_eq_u64_e32 vcc, 0, v[16:17]
	v_cndmask_b32_e32 v24, v3, v24, vcc
; %bb.101:                              ;   in Loop: Header=BB2_5 Depth=1
	s_or_b64 exec, exec, s[0:1]
	v_cvt_f32_f16_e64 v3, -v9
	v_mov_b32_e32 v29, v17
	v_mul_f32_e32 v4, 0x3fb8aa3b, v3
	v_rndne_f32_e32 v7, v4
	v_fma_mix_f32 v8, -v9, s9, -v4 op_sel_hi:[1,0,0]
	v_sub_f32_e32 v4, v4, v7
	v_fma_mix_f32 v8, -v9, s31, v8 op_sel_hi:[1,0,0]
	v_add_f32_e32 v4, v4, v8
	v_cvt_i32_f32_e32 v7, v7
	v_exp_f32_e32 v4, v4
	v_cvt_f32_f16_e32 v8, v9
	v_cmp_ngt_f32_e32 vcc, s33, v3
	v_ldexp_f32 v4, v4, v7
	v_cndmask_b32_e32 v4, 0, v4, vcc
	v_cmp_nlt_f32_e32 vcc, s34, v3
	v_cndmask_b32_e32 v3, v32, v4, vcc
	v_add_f32_e32 v3, 1.0, v3
	v_div_scale_f32 v4, s[0:1], v3, v3, v8
	v_rcp_f32_e32 v7, v4
	v_div_scale_f32 v16, vcc, v8, v3, v8
	v_fma_f32 v19, -v4, v7, 1.0
	v_fmac_f32_e32 v7, v19, v7
	v_mul_f32_e32 v19, v16, v7
	v_fma_f32 v21, -v4, v19, v16
	v_fmac_f32_e32 v19, v21, v7
	v_fma_f32 v4, -v4, v19, v16
	v_div_fmas_f32 v4, v4, v7, v19
	v_div_fixup_f32 v3, v4, v3, v8
	v_cvt_f16_f32_e32 v3, v3
	v_mul_f16_e32 v3, v5, v3
	v_cvt_f32_f16_e32 v3, v3
	v_mul_f32_e32 v3, v10, v3
	v_min_f32_e32 v3, 0x43e00000, v3
	v_max_f32_e32 v3, 0xc3e00000, v3
	v_and_b32_sdwa v4, v3, s35 dst_sel:DWORD dst_unused:UNUSED_PAD src0_sel:BYTE_3 src1_sel:DWORD
	v_and_b32_e32 v28, 0x7f800000, v3
	v_and_b32_e32 v16, 0x7fffff, v3
	v_or_b32_e32 v26, 0x7e, v4
	v_cmp_ne_u64_e32 vcc, s[12:13], v[28:29]
	s_and_saveexec_b64 s[0:1], vcc
	s_xor_b64 s[16:17], exec, s[0:1]
	s_cbranch_execz .LBB2_115
; %bb.102:                              ;   in Loop: Header=BB2_5 Depth=1
	v_and_b32_e32 v28, 0x7fffffff, v3
	v_mov_b32_e32 v29, v17
	v_cmp_gt_u64_e32 vcc, s[14:15], v[28:29]
	s_and_saveexec_b64 s[0:1], vcc
	s_xor_b64 s[18:19], exec, s[0:1]
	s_cbranch_execz .LBB2_114
; %bb.103:                              ;   in Loop: Header=BB2_5 Depth=1
	v_cmp_ne_u32_e32 vcc, 0, v3
	v_pk_mov_b32 v[26:27], 0, 0
	s_and_saveexec_b64 s[20:21], vcc
	s_cbranch_execz .LBB2_113
; %bb.104:                              ;   in Loop: Header=BB2_5 Depth=1
	v_bfe_u32 v3, v3, 23, 8
	v_sub_u32_e64 v7, s36, v3 clamp
	v_cmp_eq_u32_e32 vcc, 0, v3
	v_add_u32_e32 v19, 0xffffff88, v3
	v_cndmask_b32_e32 v3, v7, v33, vcc
	v_add_u32_e32 v7, 20, v3
	v_lshlrev_b64 v[26:27], v7, -1
	v_or_b32_e32 v8, 0x800000, v16
	v_not_b32_e32 v7, v27
	v_cndmask_b32_e32 v16, v8, v16, vcc
	v_not_b32_e32 v8, v26
	v_and_b32_e32 v27, 0, v7
	v_add_u32_e32 v7, 19, v3
	v_and_b32_e32 v26, v16, v8
	v_lshlrev_b64 v[28:29], v7, 1
	v_cmp_eq_u64_e64 s[0:1], v[26:27], v[28:29]
	v_lshrrev_b64 v[26:27], v3, v[16:17]
	v_and_b32_e32 v16, 0x100000, v26
	v_cndmask_b32_e32 v7, v19, v34, vcc
	v_cmp_eq_u64_e32 vcc, 0, v[16:17]
	v_lshrrev_b32_e32 v8, 23, v26
	s_and_b64 vcc, vcc, s[0:1]
	v_add3_u32 v7, v7, v3, v8
	v_subbrev_co_u32_e32 v3, vcc, 0, v26, vcc
	v_and_b32_e32 v3, 0xfffff, v3
	v_add_co_u32_e32 v26, vcc, v3, v26
	v_add_u32_e32 v8, -1, v7
	v_addc_co_u32_e32 v27, vcc, 0, v27, vcc
	v_cmp_ne_u32_e32 vcc, 0, v8
                                        ; implicit-def: $vgpr3
	s_and_saveexec_b64 s[0:1], vcc
	s_xor_b64 s[0:1], exec, s[0:1]
; %bb.105:                              ;   in Loop: Header=BB2_5 Depth=1
	v_and_b32_e32 v16, 0x1000000, v26
	v_cmp_eq_u64_e32 vcc, 0, v[16:17]
	v_cndmask_b32_e32 v3, v7, v8, vcc
	v_bfe_u32 v7, v26, 24, 1
	v_lshrrev_b64 v[26:27], v7, v[26:27]
; %bb.106:                              ;   in Loop: Header=BB2_5 Depth=1
	s_andn2_saveexec_b64 s[0:1], s[0:1]
; %bb.107:                              ;   in Loop: Header=BB2_5 Depth=1
	v_bfe_u32 v3, v26, 23, 1
; %bb.108:                              ;   in Loop: Header=BB2_5 Depth=1
	s_or_b64 exec, exec, s[0:1]
	v_lshrrev_b64 v[26:27], 20, v[26:27]
	v_cmp_gt_i32_e32 vcc, 16, v3
	v_cndmask_b32_e32 v29, 0, v27, vcc
	v_cndmask_b32_e32 v28, 7, v26, vcc
	v_cmp_ne_u32_e32 vcc, 0, v3
	v_cmp_ne_u64_e64 s[0:1], 0, v[28:29]
	s_or_b64 s[0:1], vcc, s[0:1]
                                        ; implicit-def: $vgpr26_vgpr27
	s_and_saveexec_b64 s[40:41], s[0:1]
	s_xor_b64 s[0:1], exec, s[40:41]
; %bb.109:                              ;   in Loop: Header=BB2_5 Depth=1
	v_min_i32_e32 v3, 15, v3
	v_lshl_or_b32 v3, v3, 3, v4
	v_and_or_b32 v26, v28, 7, v3
                                        ; implicit-def: $vgpr4
; %bb.110:                              ;   in Loop: Header=BB2_5 Depth=1
	s_andn2_saveexec_b64 s[0:1], s[0:1]
; %bb.111:                              ;   in Loop: Header=BB2_5 Depth=1
	v_pk_mov_b32 v[26:27], v[4:5], v[4:5] op_sel:[0,1]
; %bb.112:                              ;   in Loop: Header=BB2_5 Depth=1
	s_or_b64 exec, exec, s[0:1]
.LBB2_113:                              ;   in Loop: Header=BB2_5 Depth=1
	s_or_b64 exec, exec, s[20:21]
.LBB2_114:                              ;   in Loop: Header=BB2_5 Depth=1
	s_andn2_saveexec_b64 s[0:1], s[18:19]
	s_or_b64 exec, exec, s[0:1]
                                        ; implicit-def: $vgpr3
.LBB2_115:                              ;   in Loop: Header=BB2_5 Depth=1
	s_andn2_saveexec_b64 s[0:1], s[16:17]
; %bb.116:                              ;   in Loop: Header=BB2_5 Depth=1
	v_or_b32_sdwa v3, v3, s37 dst_sel:DWORD dst_unused:UNUSED_PAD src0_sel:BYTE_3 src1_sel:DWORD
	v_cmp_eq_u64_e32 vcc, 0, v[16:17]
	v_cndmask_b32_e32 v26, v3, v26, vcc
; %bb.117:                              ;   in Loop: Header=BB2_5 Depth=1
	s_or_b64 exec, exec, s[0:1]
	v_cvt_f32_f16_sdwa v3, -v9 dst_sel:DWORD dst_unused:UNUSED_PAD src0_sel:WORD_1
	v_mov_b32_e32 v29, v17
	v_mul_f32_e32 v4, 0x3fb8aa3b, v3
	v_rndne_f32_e32 v7, v4
	v_fma_mix_f32 v8, -v9, s9, -v4 op_sel:[1,0,0] op_sel_hi:[1,0,0]
	v_sub_f32_e32 v4, v4, v7
	v_fma_mix_f32 v8, -v9, s31, v8 op_sel:[1,0,0] op_sel_hi:[1,0,0]
	v_add_f32_e32 v4, v4, v8
	v_cvt_i32_f32_e32 v7, v7
	v_exp_f32_e32 v4, v4
	v_cvt_f32_f16_sdwa v8, v9 dst_sel:DWORD dst_unused:UNUSED_PAD src0_sel:WORD_1
	v_cmp_ngt_f32_e32 vcc, s33, v3
	v_ldexp_f32 v4, v4, v7
	v_cndmask_b32_e32 v4, 0, v4, vcc
	v_cmp_nlt_f32_e32 vcc, s34, v3
	v_cndmask_b32_e32 v3, v32, v4, vcc
	v_add_f32_e32 v3, 1.0, v3
	v_div_scale_f32 v4, s[0:1], v3, v3, v8
	v_rcp_f32_e32 v7, v4
	v_div_scale_f32 v9, vcc, v8, v3, v8
	v_fma_f32 v16, -v4, v7, 1.0
	v_fmac_f32_e32 v7, v16, v7
	v_mul_f32_e32 v16, v9, v7
	v_fma_f32 v19, -v4, v16, v9
	v_fmac_f32_e32 v16, v19, v7
	v_fma_f32 v4, -v4, v16, v9
	v_div_fmas_f32 v4, v4, v7, v16
	v_div_fixup_f32 v3, v4, v3, v8
	v_cvt_f16_f32_e32 v3, v3
	v_mul_f16_sdwa v3, v5, v3 dst_sel:DWORD dst_unused:UNUSED_PAD src0_sel:WORD_1 src1_sel:DWORD
	v_cvt_f32_f16_e32 v3, v3
	v_mul_f32_e32 v3, v10, v3
	v_min_f32_e32 v3, 0x43e00000, v3
	v_max_f32_e32 v3, 0xc3e00000, v3
	v_and_b32_sdwa v4, v3, s35 dst_sel:DWORD dst_unused:UNUSED_PAD src0_sel:BYTE_3 src1_sel:DWORD
	v_and_b32_e32 v28, 0x7f800000, v3
	v_and_b32_e32 v16, 0x7fffff, v3
	v_or_b32_e32 v8, 0x7e, v4
	v_cmp_ne_u64_e32 vcc, s[12:13], v[28:29]
	s_and_saveexec_b64 s[0:1], vcc
	s_xor_b64 s[16:17], exec, s[0:1]
	s_cbranch_execz .LBB2_131
; %bb.118:                              ;   in Loop: Header=BB2_5 Depth=1
	v_and_b32_e32 v28, 0x7fffffff, v3
	v_mov_b32_e32 v29, v17
	v_cmp_gt_u64_e32 vcc, s[14:15], v[28:29]
	s_and_saveexec_b64 s[0:1], vcc
	s_xor_b64 s[18:19], exec, s[0:1]
	s_cbranch_execz .LBB2_130
; %bb.119:                              ;   in Loop: Header=BB2_5 Depth=1
	v_cmp_ne_u32_e32 vcc, 0, v3
	v_pk_mov_b32 v[8:9], 0, 0
	s_and_saveexec_b64 s[20:21], vcc
	s_cbranch_execz .LBB2_129
; %bb.120:                              ;   in Loop: Header=BB2_5 Depth=1
	v_bfe_u32 v3, v3, 23, 8
	v_sub_u32_e64 v5, s36, v3 clamp
	v_cmp_eq_u32_e32 vcc, 0, v3
	v_add_u32_e32 v19, 0xffffff88, v3
	v_cndmask_b32_e32 v3, v5, v33, vcc
	v_add_u32_e32 v5, 20, v3
	v_lshlrev_b64 v[8:9], v5, -1
	v_or_b32_e32 v7, 0x800000, v16
	v_not_b32_e32 v5, v9
	v_cndmask_b32_e32 v16, v7, v16, vcc
	v_not_b32_e32 v7, v8
	v_and_b32_e32 v9, 0, v5
	v_add_u32_e32 v5, 19, v3
	v_and_b32_e32 v8, v16, v7
	v_lshlrev_b64 v[28:29], v5, 1
	v_cmp_eq_u64_e64 s[0:1], v[8:9], v[28:29]
	v_lshrrev_b64 v[8:9], v3, v[16:17]
	v_and_b32_e32 v16, 0x100000, v8
	v_cndmask_b32_e32 v5, v19, v34, vcc
	v_cmp_eq_u64_e32 vcc, 0, v[16:17]
	v_lshrrev_b32_e32 v7, 23, v8
	s_and_b64 vcc, vcc, s[0:1]
	v_add3_u32 v5, v5, v3, v7
	v_subbrev_co_u32_e32 v3, vcc, 0, v8, vcc
	v_and_b32_e32 v3, 0xfffff, v3
	v_add_co_u32_e32 v8, vcc, v3, v8
	v_add_u32_e32 v7, -1, v5
	v_addc_co_u32_e32 v9, vcc, 0, v9, vcc
	v_cmp_ne_u32_e32 vcc, 0, v7
                                        ; implicit-def: $vgpr3
	s_and_saveexec_b64 s[0:1], vcc
	s_xor_b64 s[0:1], exec, s[0:1]
; %bb.121:                              ;   in Loop: Header=BB2_5 Depth=1
	v_and_b32_e32 v16, 0x1000000, v8
	v_cmp_eq_u64_e32 vcc, 0, v[16:17]
	v_cndmask_b32_e32 v3, v5, v7, vcc
	v_bfe_u32 v5, v8, 24, 1
	v_lshrrev_b64 v[8:9], v5, v[8:9]
; %bb.122:                              ;   in Loop: Header=BB2_5 Depth=1
	s_andn2_saveexec_b64 s[0:1], s[0:1]
; %bb.123:                              ;   in Loop: Header=BB2_5 Depth=1
	v_bfe_u32 v3, v8, 23, 1
; %bb.124:                              ;   in Loop: Header=BB2_5 Depth=1
	s_or_b64 exec, exec, s[0:1]
	v_lshrrev_b64 v[8:9], 20, v[8:9]
	v_cmp_gt_i32_e32 vcc, 16, v3
	v_cndmask_b32_e32 v29, 0, v9, vcc
	v_cndmask_b32_e32 v28, 7, v8, vcc
	v_cmp_ne_u32_e32 vcc, 0, v3
	v_cmp_ne_u64_e64 s[0:1], 0, v[28:29]
	s_or_b64 s[0:1], vcc, s[0:1]
                                        ; implicit-def: $vgpr8_vgpr9
	s_and_saveexec_b64 s[40:41], s[0:1]
	s_xor_b64 s[0:1], exec, s[40:41]
; %bb.125:                              ;   in Loop: Header=BB2_5 Depth=1
	v_min_i32_e32 v3, 15, v3
	v_lshl_or_b32 v3, v3, 3, v4
	v_and_or_b32 v8, v28, 7, v3
                                        ; implicit-def: $vgpr4
; %bb.126:                              ;   in Loop: Header=BB2_5 Depth=1
	s_andn2_saveexec_b64 s[0:1], s[0:1]
; %bb.127:                              ;   in Loop: Header=BB2_5 Depth=1
	v_pk_mov_b32 v[8:9], v[4:5], v[4:5] op_sel:[0,1]
; %bb.128:                              ;   in Loop: Header=BB2_5 Depth=1
	s_or_b64 exec, exec, s[0:1]
.LBB2_129:                              ;   in Loop: Header=BB2_5 Depth=1
	s_or_b64 exec, exec, s[20:21]
.LBB2_130:                              ;   in Loop: Header=BB2_5 Depth=1
	s_andn2_saveexec_b64 s[0:1], s[18:19]
	s_or_b64 exec, exec, s[0:1]
                                        ; implicit-def: $vgpr3
.LBB2_131:                              ;   in Loop: Header=BB2_5 Depth=1
	s_andn2_saveexec_b64 s[0:1], s[16:17]
	s_cbranch_execz .LBB2_4
; %bb.132:                              ;   in Loop: Header=BB2_5 Depth=1
	v_or_b32_sdwa v3, v3, s37 dst_sel:DWORD dst_unused:UNUSED_PAD src0_sel:BYTE_3 src1_sel:DWORD
	v_cmp_eq_u64_e32 vcc, 0, v[16:17]
	v_cndmask_b32_e32 v8, v3, v8, vcc
	s_branch .LBB2_4
.LBB2_133:
	s_or_b64 exec, exec, s[4:5]
	s_sub_i32 s0, 8, s24
	s_cmp_gt_i32 s52, s0
	s_cbranch_scc0 .LBB2_164
; %bb.134:
	v_add_u32_e32 v0, s0, v0
	v_cmp_gt_i32_e32 vcc, s52, v0
	s_and_saveexec_b64 s[0:1], vcc
	s_cbranch_execz .LBB2_164
; %bb.135:
	s_load_dword s2, s[2:3], 0xc
	s_ashr_i32 s53, s52, 31
	v_mov_b32_e32 v2, s53
	v_mov_b32_e32 v1, 0
	s_mov_b32 s33, 0
	s_waitcnt lgkmcnt(0)
	s_and_b32 s72, s2, 0xffff
	v_add_co_u32_e32 v4, vcc, s72, v0
	v_addc_co_u32_e64 v5, s[0:1], 0, 0, vcc
	v_cmp_gt_i64_e32 vcc, s[52:53], v[4:5]
	v_cndmask_b32_e32 v6, v5, v2, vcc
	v_mov_b32_e32 v2, s52
	v_cndmask_b32_e32 v3, v4, v2, vcc
	v_cndmask_b32_e64 v2, 0, 1, vcc
	v_add_co_u32_e32 v4, vcc, v4, v2
	v_addc_co_u32_e32 v5, vcc, 0, v5, vcc
	v_sub_co_u32_e32 v3, vcc, v3, v4
	v_cmp_gt_u16_e64 s[0:1], s2, 1
	v_subb_co_u32_e32 v5, vcc, v6, v5, vcc
	s_and_b64 s[0:1], s[0:1], exec
	v_mov_b32_e32 v4, v1
	s_cselect_b32 s0, 0, 0
	s_cselect_b32 s4, s72, 1
	v_cmp_ne_u64_e32 vcc, 0, v[4:5]
                                        ; implicit-def: $vgpr6_vgpr7
	s_and_saveexec_b64 s[2:3], vcc
	s_xor_b64 s[2:3], exec, s[2:3]
	s_cbranch_execz .LBB2_137
; %bb.136:
	v_cvt_f32_u32_e32 v4, s4
	v_mov_b32_e32 v6, 0x4f800000
	s_sub_u32 s1, 0, s4
	s_subb_u32 s0, 0, s0
	v_mac_f32_e32 v4, 0, v6
	v_rcp_f32_e32 v4, v4
	v_mul_f32_e32 v4, 0x5f7ffffc, v4
	v_mul_f32_e32 v6, 0x2f800000, v4
	v_trunc_f32_e32 v6, v6
	v_madmk_f32 v4, v6, 0xcf800000, v4
	v_cvt_u32_f32_e32 v6, v6
	v_cvt_u32_f32_e32 v4, v4
	v_mul_lo_u32 v7, s1, v6
	v_mul_hi_u32 v9, s1, v4
	v_mul_lo_u32 v8, s0, v4
	v_add_u32_e32 v7, v9, v7
	v_mul_lo_u32 v11, s1, v4
	v_add_u32_e32 v7, v7, v8
	v_mul_hi_u32 v9, v4, v11
	v_mul_lo_u32 v12, v4, v7
	v_mul_hi_u32 v8, v4, v7
	v_add_co_u32_e32 v9, vcc, v9, v12
	v_addc_co_u32_e32 v8, vcc, 0, v8, vcc
	v_mul_hi_u32 v13, v6, v11
	v_mul_lo_u32 v11, v6, v11
	v_add_co_u32_e32 v9, vcc, v9, v11
	v_mul_hi_u32 v12, v6, v7
	v_addc_co_u32_e32 v8, vcc, v8, v13, vcc
	v_addc_co_u32_e32 v9, vcc, 0, v12, vcc
	v_mul_lo_u32 v7, v6, v7
	v_add_co_u32_e32 v7, vcc, v8, v7
	v_addc_co_u32_e32 v8, vcc, 0, v9, vcc
	v_add_co_u32_e32 v4, vcc, v4, v7
	v_addc_co_u32_e32 v6, vcc, v6, v8, vcc
	v_mul_lo_u32 v7, s1, v6
	v_mul_hi_u32 v8, s1, v4
	v_add_u32_e32 v7, v8, v7
	v_mul_lo_u32 v8, s0, v4
	v_add_u32_e32 v7, v7, v8
	v_mul_lo_u32 v9, s1, v4
	v_mul_hi_u32 v11, v6, v9
	v_mul_lo_u32 v12, v6, v9
	v_mul_lo_u32 v14, v4, v7
	v_mul_hi_u32 v9, v4, v9
	v_mul_hi_u32 v13, v4, v7
	v_add_co_u32_e32 v9, vcc, v9, v14
	v_addc_co_u32_e32 v13, vcc, 0, v13, vcc
	v_add_co_u32_e32 v9, vcc, v9, v12
	v_mul_hi_u32 v8, v6, v7
	v_addc_co_u32_e32 v9, vcc, v13, v11, vcc
	v_addc_co_u32_e32 v8, vcc, 0, v8, vcc
	v_mul_lo_u32 v7, v6, v7
	v_add_co_u32_e32 v7, vcc, v9, v7
	v_addc_co_u32_e32 v8, vcc, 0, v8, vcc
	v_add_co_u32_e32 v4, vcc, v4, v7
	v_addc_co_u32_e32 v8, vcc, v6, v8, vcc
	v_mad_u64_u32 v[6:7], s[0:1], v3, v8, 0
	v_mul_hi_u32 v9, v3, v4
	v_add_co_u32_e32 v11, vcc, v9, v6
	v_addc_co_u32_e32 v12, vcc, 0, v7, vcc
	v_mad_u64_u32 v[6:7], s[0:1], v5, v8, 0
	v_mad_u64_u32 v[8:9], s[0:1], v5, v4, 0
	v_add_co_u32_e32 v4, vcc, v11, v8
	v_addc_co_u32_e32 v4, vcc, v12, v9, vcc
	v_addc_co_u32_e32 v7, vcc, 0, v7, vcc
	v_add_co_u32_e32 v11, vcc, v4, v6
	v_addc_co_u32_e32 v12, vcc, 0, v7, vcc
	v_mad_u64_u32 v[6:7], s[0:1], s4, v11, 0
	v_mov_b32_e32 v4, v7
	v_mad_u64_u32 v[8:9], s[0:1], s4, v12, v[4:5]
	v_sub_co_u32_e32 v3, vcc, v3, v6
	v_subb_co_u32_e32 v4, vcc, v5, v8, vcc
	v_subrev_co_u32_e32 v5, vcc, s4, v3
	v_subbrev_co_u32_e32 v6, vcc, 0, v4, vcc
	v_cmp_le_u32_e32 vcc, s4, v5
	v_cndmask_b32_e64 v5, 0, -1, vcc
	v_cmp_eq_u32_e32 vcc, 0, v6
	v_cndmask_b32_e32 v5, -1, v5, vcc
	v_add_co_u32_e32 v6, vcc, 2, v11
	v_addc_co_u32_e32 v7, vcc, 0, v12, vcc
	v_add_co_u32_e32 v8, vcc, 1, v11
	v_cmp_le_u32_e64 s[0:1], s4, v3
	v_addc_co_u32_e32 v9, vcc, 0, v12, vcc
	v_cndmask_b32_e64 v3, 0, -1, s[0:1]
	v_cmp_eq_u32_e64 s[0:1], 0, v4
	v_cmp_ne_u32_e32 vcc, 0, v5
	v_cndmask_b32_e64 v3, -1, v3, s[0:1]
	v_cndmask_b32_e32 v5, v9, v7, vcc
	v_cmp_ne_u32_e64 s[0:1], 0, v3
	v_cndmask_b32_e32 v3, v8, v6, vcc
	v_cndmask_b32_e64 v7, v12, v5, s[0:1]
	v_cndmask_b32_e64 v6, v11, v3, s[0:1]
                                        ; implicit-def: $vgpr3
.LBB2_137:
	s_andn2_saveexec_b64 s[0:1], s[2:3]
	s_cbranch_execz .LBB2_139
; %bb.138:
	v_cvt_f32_u32_e32 v4, s4
	s_sub_i32 s2, 0, s4
	v_mov_b32_e32 v7, 0
	v_rcp_iflag_f32_e32 v4, v4
	v_mul_f32_e32 v4, 0x4f7ffffe, v4
	v_cvt_u32_f32_e32 v4, v4
	v_mul_lo_u32 v5, s2, v4
	v_mul_hi_u32 v5, v4, v5
	v_add_u32_e32 v4, v4, v5
	v_mul_hi_u32 v4, v3, v4
	v_mul_lo_u32 v5, v4, s4
	v_sub_u32_e32 v3, v3, v5
	v_add_u32_e32 v6, 1, v4
	v_subrev_u32_e32 v5, s4, v3
	v_cmp_le_u32_e32 vcc, s4, v3
	v_cndmask_b32_e32 v3, v3, v5, vcc
	v_cndmask_b32_e32 v4, v4, v6, vcc
	v_add_u32_e32 v5, 1, v4
	v_cmp_le_u32_e32 vcc, s4, v3
	v_cndmask_b32_e32 v6, v4, v5, vcc
.LBB2_139:
	s_or_b64 exec, exec, s[0:1]
	v_add_co_u32_e32 v2, vcc, v6, v2
	v_addc_co_u32_e32 v3, vcc, 0, v7, vcc
	v_add_co_u32_e32 v2, vcc, 1, v2
	v_addc_co_u32_e32 v3, vcc, 0, v3, vcc
	v_cmp_gt_u64_e32 vcc, 4, v[2:3]
	v_cmp_ne_u16_e64 s[0:1], s72, 1
                                        ; kill: def $vgpr4_vgpr5 killed $sgpr0_sgpr1 killed $exec
	s_or_b64 s[4:5], vcc, s[0:1]
	s_mov_b64 s[56:57], 0
	v_mov_b32_e32 v5, v3
                                        ; implicit-def: $sgpr2_sgpr3
                                        ; implicit-def: $sgpr0_sgpr1
	s_and_saveexec_b64 s[8:9], s[4:5]
	s_xor_b64 s[4:5], exec, s[8:9]
; %bb.140:
	s_lshl_b64 s[0:1], s[6:7], 2
	s_or_b32 s0, s0, 2
	s_mul_i32 s2, s0, s23
	s_mul_hi_u32 s3, s0, s22
	s_add_i32 s2, s3, s2
	s_mul_i32 s1, s1, s22
	s_mov_b64 s[56:57], exec
	s_add_i32 s3, s2, s1
	s_mul_i32 s2, s0, s22
	s_lshl_b64 s[0:1], s[54:55], 2
                                        ; implicit-def: $vgpr2_vgpr3
                                        ; implicit-def: $vgpr5
; %bb.141:
	s_or_saveexec_b64 s[58:59], s[4:5]
	v_pk_mov_b32 v[6:7], s[2:3], s[2:3] op_sel:[0,1]
	v_pk_mov_b32 v[8:9], s[0:1], s[0:1] op_sel:[0,1]
	s_xor_b64 exec, exec, s[58:59]
	s_cbranch_execz .LBB2_145
; %bb.142:
	s_lshl_b64 s[0:1], s[6:7], 2
	s_or_b32 s0, s0, 2
	s_mul_i32 s3, s0, s23
	s_mul_hi_u32 s4, s0, s22
	s_add_i32 s3, s4, s3
	s_mul_i32 s1, s1, s22
	s_lshl_b64 s[60:61], s[54:55], 2
	v_lshlrev_b32_e32 v6, 1, v0
	s_lshl_b32 s73, s72, 3
	s_add_i32 s63, s3, s1
	v_mov_b32_e32 v7, s51
	v_add_co_u32_e32 v6, vcc, s50, v6
	s_mul_i32 s62, s0, s22
	s_add_u32 s0, s48, s54
	v_addc_co_u32_e32 v7, vcc, 0, v7, vcc
	s_addc_u32 s1, s49, s55
	v_and_b32_e32 v4, -4, v2
	s_mov_b32 s2, 0
	v_mov_b32_e32 v9, s1
	v_add_co_u32_e32 v8, vcc, s0, v0
	v_mov_b32_e32 v11, v10
	v_addc_co_u32_e32 v9, vcc, 0, v9, vcc
	s_lshl_b32 s74, s72, 2
	s_mov_b64 s[64:65], 0
	v_mov_b32_e32 v50, s61
	v_mov_b32_e32 v51, s63
	s_mov_b32 s75, 0x3fb8aa3b
	s_mov_b32 s76, 0x32a5705f
	;; [unrolled: 1-line block ×4, first 2 shown]
	v_mov_b32_e32 v52, 0x7f800000
	v_mov_b32_e32 v12, v10
	;; [unrolled: 1-line block ×3, first 2 shown]
	s_movk_i32 s79, 0x80
	s_mov_b64 s[66:67], 0x7f800000
	s_mov_b64 s[68:69], 0x43e00000
	;; [unrolled: 1-line block ×3, first 2 shown]
	s_movk_i32 s80, 0x79
	v_mov_b32_e32 v53, 0x78
	v_mov_b32_e32 v54, 0xffffff89
	s_movk_i32 s81, 0x7f
	v_mov_b32_e32 v55, s2
	v_mov_b32_e32 v56, s2
	;; [unrolled: 1-line block ×3, first 2 shown]
	v_pk_mov_b32 v[16:17], v[4:5], v[4:5] op_sel:[0,1]
.LBB2_143:                              ; =>This Inner Loop Header: Depth=1
	v_add_co_u32_e32 v28, vcc, s60, v6
	v_addc_co_u32_e32 v29, vcc, v7, v50, vcc
	v_add_co_u32_e32 v30, vcc, s62, v6
	v_addc_co_u32_e32 v31, vcc, v7, v51, vcc
	global_load_dwordx2 v[38:39], v[28:29], off
	global_load_dwordx2 v[44:45], v[30:31], off
	v_mov_b32_e32 v37, v15
	v_mov_b32_e32 v33, v15
	;; [unrolled: 1-line block ×12, first 2 shown]
	v_add_co_u32_e64 v16, s[18:19], -4, v16
	v_addc_co_u32_e64 v17, s[18:19], -1, v17, s[18:19]
	v_add_co_u32_e64 v6, s[18:19], s73, v6
	v_addc_co_u32_e64 v7, s[18:19], v7, v55, s[18:19]
	v_cmp_eq_u64_e64 s[18:19], 0, v[16:17]
	s_waitcnt vmcnt(1)
	v_cvt_f32_f16_e64 v22, -v38
	v_cvt_f32_f16_sdwa v26, -v38 dst_sel:DWORD dst_unused:UNUSED_PAD src0_sel:WORD_1
	v_cvt_f32_f16_e64 v28, -v39
	v_cvt_f32_f16_sdwa v29, -v39 dst_sel:DWORD dst_unused:UNUSED_PAD src0_sel:WORD_1
	v_mul_f32_e32 v30, 0x3fb8aa3b, v22
	v_mul_f32_e32 v31, 0x3fb8aa3b, v26
	v_mul_f32_e32 v32, 0x3fb8aa3b, v28
	v_mul_f32_e32 v34, 0x3fb8aa3b, v29
	v_fma_mix_f32 v36, -v38, s75, -v30 op_sel_hi:[1,0,0]
	v_rndne_f32_e32 v40, v30
	v_fma_mix_f32 v42, -v38, s75, -v31 op_sel:[1,0,0] op_sel_hi:[1,0,0]
	v_fma_mix_f32 v43, -v39, s75, -v32 op_sel_hi:[1,0,0]
	v_cvt_f32_f16_sdwa v14, v38 dst_sel:DWORD dst_unused:UNUSED_PAD src0_sel:WORD_1
	v_cvt_f32_f16_e32 v20, v38
	v_fma_mix_f32 v46, -v39, s75, -v34 op_sel:[1,0,0] op_sel_hi:[1,0,0]
	v_fma_mix_f32 v36, -v38, s76, v36 op_sel_hi:[1,0,0]
	v_fma_mix_f32 v38, -v38, s76, v42 op_sel:[1,0,0] op_sel_hi:[1,0,0]
	v_fma_mix_f32 v42, -v39, s76, v43 op_sel_hi:[1,0,0]
	v_rndne_f32_e32 v43, v31
	v_sub_f32_e32 v30, v30, v40
	v_cvt_f32_f16_sdwa v18, v39 dst_sel:DWORD dst_unused:UNUSED_PAD src0_sel:WORD_1
	v_cvt_f32_f16_e32 v24, v39
	v_fma_mix_f32 v39, -v39, s76, v46 op_sel:[1,0,0] op_sel_hi:[1,0,0]
	v_rndne_f32_e32 v46, v32
	v_add_f32_e32 v30, v30, v36
	v_rndne_f32_e32 v36, v34
	v_sub_f32_e32 v31, v31, v43
	v_sub_f32_e32 v32, v32, v46
	;; [unrolled: 1-line block ×3, first 2 shown]
	v_add_f32_e32 v31, v31, v38
	v_cvt_i32_f32_e32 v40, v40
	v_cvt_i32_f32_e32 v43, v43
	v_add_f32_e32 v32, v32, v42
	v_add_f32_e32 v34, v34, v39
	v_exp_f32_e32 v30, v30
	v_exp_f32_e32 v31, v31
	v_cvt_i32_f32_e32 v46, v46
	v_cvt_i32_f32_e32 v36, v36
	v_exp_f32_e32 v32, v32
	v_exp_f32_e32 v34, v34
	v_ldexp_f32 v30, v30, v40
	v_ldexp_f32 v31, v31, v43
	v_cmp_ngt_f32_e32 vcc, s77, v26
	v_cmp_ngt_f32_e64 s[4:5], s77, v22
	v_ldexp_f32 v32, v32, v46
	v_cmp_ngt_f32_e64 s[0:1], s77, v28
	v_ldexp_f32 v34, v34, v36
	v_cmp_ngt_f32_e64 s[2:3], s77, v29
	v_cndmask_b32_e64 v30, 0, v30, s[4:5]
	v_cndmask_b32_e32 v31, 0, v31, vcc
	v_cmp_nlt_f32_e32 vcc, s78, v26
	v_cmp_nlt_f32_e64 s[4:5], s78, v22
	v_cndmask_b32_e64 v26, 0, v32, s[0:1]
	v_cmp_nlt_f32_e64 s[0:1], s78, v28
	v_cndmask_b32_e64 v32, 0, v34, s[2:3]
	;; [unrolled: 2-line block ×3, first 2 shown]
	v_cndmask_b32_e32 v29, v52, v31, vcc
	v_pk_add_f32 v[28:29], v[28:29], 1.0 op_sel_hi:[1,0]
	v_cndmask_b32_e64 v30, v52, v26, s[0:1]
	v_cndmask_b32_e64 v31, v52, v32, s[2:3]
	v_div_scale_f32 v22, s[0:1], v28, v28, v20
	v_pk_add_f32 v[58:59], v[30:31], 1.0 op_sel_hi:[1,0]
	v_div_scale_f32 v30, s[0:1], v29, v29, v14
	v_rcp_f32_e32 v32, v22
	v_rcp_f32_e32 v36, v30
	v_div_scale_f32 v26, vcc, v20, v28, v20
	v_fma_f32 v38, -v22, v32, 1.0
	v_fma_f32 v40, -v30, v36, 1.0
	v_fmac_f32_e32 v32, v38, v32
	v_div_scale_f32 v31, s[0:1], v14, v29, v14
	v_fmac_f32_e32 v36, v40, v36
	v_mul_f32_e32 v38, v26, v32
	v_mul_f32_e32 v40, v31, v36
	v_fma_f32 v42, -v22, v38, v26
	v_fmac_f32_e32 v38, v42, v32
	v_fma_f32 v42, -v30, v40, v31
	v_fmac_f32_e32 v40, v42, v36
	v_fma_f32 v22, -v22, v38, v26
	v_fma_f32 v30, -v30, v40, v31
	v_div_fmas_f32 v22, v22, v32, v38
	s_mov_b64 vcc, s[0:1]
	v_div_fixup_f32 v20, v22, v28, v20
	v_div_fmas_f32 v22, v30, v36, v40
	v_div_fixup_f32 v14, v22, v29, v14
	v_cvt_f16_f32_e32 v20, v20
	v_cvt_f16_f32_e32 v14, v14
	v_div_scale_f32 v34, s[2:3], v58, v58, v24
	v_div_scale_f32 v48, s[2:3], v59, v59, v18
	v_pack_b32_f16 v14, v20, v14
	s_waitcnt vmcnt(0)
	v_pk_mul_f16 v14, v44, v14
	v_cvt_f32_f16_e32 v28, v14
	v_cvt_f32_f16_sdwa v29, v14 dst_sel:DWORD dst_unused:UNUSED_PAD src0_sel:WORD_1
	v_rcp_f32_e32 v31, v34
	v_div_scale_f32 v39, s[8:9], v24, v58, v24
	v_pk_mul_f32 v[28:29], v[10:11], v[28:29]
	v_min_f32_e32 v14, 0x43e00000, v29
	v_max_f32_e32 v14, 0xc3e00000, v14
	v_bfe_u32 v44, v14, 23, 8
	v_sub_u32_e64 v29, s80, v44 clamp
	v_cmp_eq_u32_e64 s[4:5], 0, v44
	v_cndmask_b32_e64 v57, v29, v53, s[4:5]
	v_min_f32_e32 v20, 0x43e00000, v28
	v_and_b32_e32 v22, 0x7fffff, v14
	v_add_u32_e32 v29, 20, v57
	v_max_f32_e32 v28, 0xc3e00000, v20
	v_or_b32_e32 v36, 0x800000, v22
	v_lshlrev_b64 v[42:43], v29, -1
	v_bfe_u32 v30, v28, 23, 8
	v_cndmask_b32_e64 v38, v36, v22, s[4:5]
	v_not_b32_e32 v29, v42
	v_add_u32_e32 v40, 19, v57
	v_and_b32_e32 v20, 0x7fffff, v28
	v_sub_u32_e64 v32, s80, v30 clamp
	v_and_b32_e32 v36, v38, v29
	v_lshlrev_b64 v[42:43], v40, 1
	v_cmp_eq_u32_e64 s[6:7], 0, v30
	v_cmp_eq_u64_e64 s[0:1], v[36:37], v[42:43]
	v_or_b32_e32 v29, 0x800000, v20
	v_cndmask_b32_e64 v36, v32, v53, s[6:7]
	v_cndmask_b32_e64 v42, v29, v20, s[6:7]
	v_add_u32_e32 v29, 20, v36
	v_lshlrev_b64 v[46:47], v29, -1
	v_not_b32_e32 v29, v46
	v_and_b32_e32 v32, v42, v29
	v_rcp_f32_e32 v29, v48
	v_add_u32_e32 v37, 19, v36
	v_lshlrev_b64 v[46:47], v37, 1
	v_cmp_eq_u64_e64 s[2:3], v[32:33], v[46:47]
	v_fma_f32 v32, -v34, v31, 1.0
	v_fma_f32 v33, -v48, v29, 1.0
	v_fmac_f32_e32 v31, v32, v31
	v_div_scale_f32 v26, s[10:11], v18, v59, v18
	v_fmac_f32_e32 v29, v33, v29
	v_mul_f32_e32 v32, v39, v31
	v_mul_f32_e32 v33, v26, v29
	v_fma_f32 v37, -v34, v32, v39
	v_fmac_f32_e32 v32, v37, v31
	v_fma_f32 v37, -v48, v33, v26
	v_fmac_f32_e32 v33, v37, v29
	v_fma_f32 v34, -v34, v32, v39
	s_mov_b64 vcc, s[8:9]
	v_div_fmas_f32 v31, v34, v31, v32
	v_fma_f32 v26, -v48, v33, v26
	s_mov_b64 vcc, s[10:11]
	v_div_fmas_f32 v26, v26, v29, v33
	v_div_fixup_f32 v24, v31, v58, v24
	v_div_fixup_f32 v18, v26, v59, v18
	v_cvt_f16_f32_e32 v24, v24
	v_cvt_f16_f32_e32 v18, v18
	v_cmp_eq_u64_e64 s[38:39], 0, v[20:21]
	v_cmp_eq_u64_e64 s[40:41], 0, v[22:23]
	v_mov_b32_e32 v39, v15
	v_pack_b32_f16 v18, v24, v18
	v_pk_mul_f16 v18, v45, v18
	v_cvt_f32_f16_e32 v20, v18
	v_cvt_f32_f16_sdwa v21, v18 dst_sel:DWORD dst_unused:UNUSED_PAD src0_sel:WORD_1
	v_and_b32_e32 v34, 0x7f800000, v28
	v_cmp_ne_u64_e64 s[8:9], s[66:67], v[34:35]
	v_mov_b32_e32 v47, v15
	v_pk_mul_f32 v[20:21], v[12:13], v[20:21]
	v_min_f32_e32 v18, 0x43e00000, v21
	v_max_f32_e32 v22, 0xc3e00000, v18
	v_min_f32_e32 v18, 0x43e00000, v20
	v_max_f32_e32 v20, 0xc3e00000, v18
	v_and_b32_e32 v24, 0x7f800000, v20
	v_and_b32_e32 v26, 0x7f800000, v22
	v_cmp_ne_u64_e64 s[22:23], s[66:67], v[24:25]
	v_and_b32_e32 v18, 0x7fffff, v22
	v_bfe_u32 v24, v22, 23, 8
	v_cmp_ne_u64_e64 s[20:21], s[66:67], v[26:27]
	v_sub_u32_e64 v26, s80, v24 clamp
	v_or_b32_e32 v27, 0x800000, v18
	v_cmp_eq_u32_e64 s[36:37], 0, v24
	v_cmp_eq_u64_e64 s[28:29], 0, v[18:19]
	v_cndmask_b32_e64 v34, v26, v53, s[36:37]
	v_cndmask_b32_e64 v32, v27, v18, s[36:37]
	v_add_u32_e32 v18, 0xffffff88, v44
	v_lshrrev_b64 v[26:27], v57, v[38:39]
	v_mov_b32_e32 v43, v15
	v_and_b32_e32 v40, 0x7f800000, v14
	v_and_b32_e32 v62, 0x7fffffff, v14
	;; [unrolled: 1-line block ×3, first 2 shown]
	v_cndmask_b32_e64 v18, v18, v54, s[4:5]
	v_lshrrev_b32_e32 v38, 23, v26
	v_cmp_ne_u64_e32 vcc, s[66:67], v[40:41]
	v_cmp_lt_u64_e64 s[14:15], s[68:69], v[62:63]
	v_and_b32_e32 v60, 0x7fffffff, v28
	v_cmp_lt_u64_e64 s[34:35], s[68:69], v[46:47]
	v_cmp_gt_u64_e64 s[30:31], s[70:71], v[46:47]
	v_add3_u32 v46, v18, v57, v38
	v_add_u32_e32 v18, 0xffffff88, v30
	v_lshrrev_b64 v[38:39], v36, v[42:43]
	v_cmp_lt_u64_e64 s[16:17], s[68:69], v[60:61]
	v_and_b32_e32 v48, 0x7fffffff, v22
	v_and_b32_sdwa v47, v14, s79 dst_sel:DWORD dst_unused:UNUSED_PAD src0_sel:BYTE_3 src1_sel:DWORD
	v_cndmask_b32_e64 v18, v18, v54, s[6:7]
	v_lshrrev_b32_e32 v30, 23, v38
	s_and_b64 s[14:15], vcc, s[14:15]
	v_cmp_lt_u64_e64 s[24:25], s[68:69], v[48:49]
	v_cmp_gt_u64_e64 s[26:27], s[70:71], v[48:49]
	v_add3_u32 v48, v18, v36, v30
	v_and_b32_sdwa v49, v28, s79 dst_sel:DWORD dst_unused:UNUSED_PAD src0_sel:BYTE_3 src1_sel:DWORD
	v_cmp_eq_u32_e64 s[6:7], 0, v28
	v_cmp_ne_u32_e64 s[42:43], 0, v28
	v_or_b32_sdwa v18, v28, s81 dst_sel:DWORD dst_unused:UNUSED_PAD src0_sel:BYTE_3 src1_sel:DWORD
	v_or_b32_sdwa v28, v14, s81 dst_sel:DWORD dst_unused:UNUSED_PAD src0_sel:BYTE_3 src1_sel:DWORD
	v_or_b32_e32 v36, 0x7e, v47
	s_and_b64 s[16:17], s[8:9], s[16:17]
	s_or_b64 s[14:15], s[14:15], s[40:41]
	v_or_b32_e32 v30, 0x7e, v49
	v_bfe_u32 v40, v20, 23, 8
	v_cndmask_b32_e64 v57, v28, v36, s[14:15]
	s_or_b64 s[14:15], s[16:17], s[38:39]
	v_mov_b32_e32 v59, v15
	v_and_b32_e32 v58, 0x100000, v26
	v_sub_u32_e64 v28, s80, v40 clamp
	v_cndmask_b32_e64 v18, v18, v30, s[14:15]
	v_cmp_eq_u32_e64 s[14:15], 0, v40
	v_cmp_eq_u32_e64 s[4:5], 0, v14
	v_cmp_ne_u32_e64 s[44:45], 0, v14
	v_cmp_eq_u64_e64 s[46:47], 0, v[58:59]
	v_and_b32_e32 v14, 0x7fffff, v20
	v_cndmask_b32_e64 v58, v28, v53, s[14:15]
	v_add_u32_e32 v28, 20, v34
	v_mov_b32_e32 v45, v15
	v_or_b32_e32 v30, 0x800000, v14
	v_and_b32_e32 v44, 0x100000, v38
	v_lshlrev_b64 v[42:43], v28, -1
	v_mov_b32_e32 v33, v15
	v_cmp_gt_u64_e64 s[12:13], s[70:71], v[60:61]
	v_cndmask_b32_e64 v36, v30, v14, s[14:15]
	v_cmp_eq_u64_e64 s[16:17], 0, v[44:45]
	v_add_u32_e32 v30, 20, v58
	v_not_b32_e32 v44, v42
	v_lshlrev_b64 v[42:43], v30, -1
	s_and_b64 s[40:41], s[8:9], s[12:13]
	v_and_b32_e32 v30, v32, v44
	v_add_u32_e32 v24, 0xffffff88, v24
	v_add_u32_e32 v40, 0xffffff88, v40
	v_lshrrev_b64 v[32:33], v34, v[32:33]
	v_mov_b32_e32 v37, v15
	v_cmp_gt_u64_e64 s[10:11], s[70:71], v[62:63]
	v_not_b32_e32 v28, v42
	v_cmp_eq_u64_e64 s[38:39], 0, v[14:15]
	v_cndmask_b32_e64 v14, v40, v54, s[14:15]
	v_cndmask_b32_e64 v24, v24, v54, s[36:37]
	v_lshrrev_b32_e32 v40, 23, v32
	s_and_b64 s[6:7], s[40:41], s[6:7]
	v_and_b32_e32 v28, v36, v28
	v_and_b32_sdwa v59, v20, s79 dst_sel:DWORD dst_unused:UNUSED_PAD src0_sel:BYTE_3 src1_sel:DWORD
	s_and_b64 s[82:83], vcc, s[10:11]
	v_cmp_eq_u32_e32 vcc, 0, v22
	v_cmp_eq_u32_e64 s[8:9], 0, v20
	s_and_b64 s[14:15], s[22:23], s[34:35]
	v_lshrrev_b64 v[36:37], v58, v[36:37]
	v_add3_u32 v44, v24, v34, v40
	s_and_b64 s[22:23], s[22:23], s[30:31]
	s_and_b64 s[26:27], s[20:21], s[26:27]
	v_cndmask_b32_e64 v60, v18, 0, s[6:7]
	v_add_u32_e32 v18, 19, v34
	v_and_b32_e32 v40, 0x100000, v32
	s_and_b64 s[0:1], s[46:47], s[0:1]
	v_mov_b32_e32 v31, v15
	v_and_b32_sdwa v45, v22, s79 dst_sel:DWORD dst_unused:UNUSED_PAD src0_sel:BYTE_3 src1_sel:DWORD
	v_cmp_ne_u32_e64 s[10:11], 0, v20
	v_or_b32_sdwa v20, v20, s81 dst_sel:DWORD dst_unused:UNUSED_PAD src0_sel:BYTE_3 src1_sel:DWORD
	v_or_b32_e32 v42, 0x7e, v59
	s_or_b64 s[14:15], s[14:15], s[38:39]
	v_lshrrev_b32_e32 v24, 23, v36
	s_and_b64 s[4:5], s[82:83], s[4:5]
	s_and_b64 s[24:25], s[20:21], s[24:25]
	;; [unrolled: 1-line block ×3, first 2 shown]
	s_and_b64 s[8:9], s[26:27], vcc
	v_cmp_eq_u64_e32 vcc, 0, v[40:41]
	v_lshlrev_b64 v[40:41], v18, 1
	v_subbrev_co_u32_e64 v18, s[0:1], 0, v26, s[0:1]
	v_cmp_ne_u32_e64 s[12:13], 0, v22
	v_or_b32_sdwa v22, v22, s81 dst_sel:DWORD dst_unused:UNUSED_PAD src0_sel:BYTE_3 src1_sel:DWORD
	v_cndmask_b32_e64 v20, v20, v42, s[14:15]
	v_add3_u32 v14, v14, v58, v24
	v_or_b32_e32 v24, 0x7e, v45
	v_cndmask_b32_e64 v57, v57, 0, s[4:5]
	s_and_b64 s[14:15], s[22:23], s[10:11]
	v_add_u32_e32 v34, 19, v58
	s_or_b64 s[4:5], s[24:25], s[28:29]
	v_cmp_eq_u64_e64 s[10:11], v[30:31], v[40:41]
	s_and_b64 s[0:1], s[16:17], s[2:3]
	v_mov_b32_e32 v29, v15
	v_cndmask_b32_e64 v22, v22, v24, s[4:5]
	v_lshlrev_b64 v[42:43], v34, 1
	v_and_b32_e32 v34, 0x100000, v36
	v_cndmask_b32_e64 v61, v20, 0, s[6:7]
	v_subbrev_co_u32_e64 v20, s[0:1], 0, v38, s[0:1]
	s_and_b64 vcc, vcc, s[10:11]
	v_cmp_eq_u64_e64 s[4:5], 0, v[34:35]
	v_cndmask_b32_e64 v35, v22, 0, s[8:9]
	v_cmp_eq_u64_e64 s[0:1], v[28:29], v[42:43]
	v_subbrev_co_u32_e32 v22, vcc, 0, v32, vcc
	s_and_b64 vcc, s[4:5], s[0:1]
	v_and_b32_e32 v18, 0xfffff, v18
	v_subbrev_co_u32_e32 v24, vcc, 0, v36, vcc
	v_add_co_u32_e32 v26, vcc, v18, v26
	v_and_b32_e32 v20, 0xfffff, v20
	v_addc_co_u32_e32 v27, vcc, 0, v27, vcc
	v_add_co_u32_e32 v28, vcc, v20, v38
	v_addc_co_u32_e32 v29, vcc, 0, v39, vcc
	v_and_b32_e32 v22, 0xfffff, v22
	v_add_co_u32_e32 v30, vcc, v22, v32
	v_and_b32_e32 v20, 0xfffff, v24
	v_addc_co_u32_e32 v31, vcc, 0, v33, vcc
	v_add_co_u32_e32 v32, vcc, v20, v36
	v_add_u32_e32 v58, -1, v48
	v_add_u32_e32 v34, -1, v46
	v_and_b32_e32 v24, 0x1000000, v28
	v_and_b32_e32 v18, 0x1000000, v26
	v_addc_co_u32_e32 v33, vcc, 0, v37, vcc
	s_and_b64 s[36:37], s[82:83], s[44:45]
	s_and_b64 s[34:35], s[40:41], s[42:43]
	v_cmp_ne_u32_e64 s[6:7], 0, v34
	v_cmp_ne_u32_e64 s[8:9], 0, v58
	v_cmp_eq_u64_e32 vcc, 0, v[24:25]
	v_cmp_eq_u64_e64 s[0:1], 0, v[18:19]
	v_mov_b32_e32 v21, v15
	v_add_u32_e32 v62, -1, v14
	v_bfe_u32 v38, v28, 23, 1
	v_bfe_u32 v39, v26, 23, 1
	v_cndmask_b32_e32 v24, v48, v58, vcc
	s_and_b64 vcc, s[34:35], s[8:9]
	v_cndmask_b32_e64 v18, v46, v34, s[0:1]
	s_and_b64 s[0:1], s[36:37], s[6:7]
	v_and_b32_e32 v20, 0x1000000, v32
	s_and_b64 s[20:21], s[26:27], s[12:13]
	v_add_u32_e32 v40, -1, v44
	v_cmp_ne_u32_e64 s[12:13], 0, v62
	v_and_b32_e32 v22, 0x1000000, v30
	v_cndmask_b32_e64 v34, v39, v18, s[0:1]
	v_cndmask_b32_e32 v24, v38, v24, vcc
	v_cndmask_b32_e64 v18, 0, 1, s[0:1]
	v_cndmask_b32_e64 v36, 0, 1, vcc
	v_cmp_eq_u64_e32 vcc, 0, v[20:21]
	v_cmp_ne_u32_e64 s[2:3], 0, v40
	v_bfe_u32 v19, v32, 23, 1
	v_cndmask_b32_e32 v14, v14, v62, vcc
	s_and_b64 vcc, s[14:15], s[12:13]
	v_cmp_eq_u64_e64 s[0:1], 0, v[22:23]
	v_and_b32_sdwa v21, v18, v26 dst_sel:DWORD dst_unused:UNUSED_PAD src0_sel:DWORD src1_sel:BYTE_3
	v_and_b32_sdwa v18, v36, v28 dst_sel:DWORD dst_unused:UNUSED_PAD src0_sel:DWORD src1_sel:BYTE_3
	v_bfe_u32 v25, v30, 23, 1
	v_cndmask_b32_e64 v20, v44, v40, s[0:1]
	s_and_b64 s[2:3], s[20:21], s[2:3]
	v_cndmask_b32_e32 v14, v19, v14, vcc
	v_lshrrev_b64 v[18:19], v18, v[28:29]
	v_min_i32_e32 v22, 15, v34
	v_cndmask_b32_e64 v36, v25, v20, s[2:3]
	v_cndmask_b32_e64 v25, 0, 1, s[2:3]
	v_cndmask_b32_e64 v37, 0, 1, vcc
	v_lshrrev_b64 v[20:21], v21, v[26:27]
	v_lshrrev_b64 v[18:19], 20, v[18:19]
	v_cmp_gt_i32_e64 s[8:9], 16, v24
	v_min_i32_e32 v23, 15, v24
	v_lshl_or_b32 v27, v22, 3, v47
	v_and_b32_sdwa v25, v25, v30 dst_sel:DWORD dst_unused:UNUSED_PAD src0_sel:DWORD src1_sel:BYTE_3
	v_and_b32_sdwa v22, v37, v32 dst_sel:DWORD dst_unused:UNUSED_PAD src0_sel:DWORD src1_sel:BYTE_3
	v_lshrrev_b64 v[20:21], 20, v[20:21]
	v_cmp_gt_i32_e32 vcc, 16, v34
	v_cndmask_b32_e64 v19, 0, v19, s[8:9]
	v_cndmask_b32_e64 v18, 7, v18, s[8:9]
	v_cmp_eq_u32_e64 s[4:5], 0, v24
	v_lshl_or_b32 v26, v23, 3, v49
	v_lshrrev_b64 v[22:23], v22, v[32:33]
	v_lshrrev_b64 v[24:25], v25, v[30:31]
	v_cndmask_b32_e32 v21, 0, v21, vcc
	v_cndmask_b32_e32 v20, 7, v20, vcc
	v_cmp_eq_u64_e64 s[10:11], 0, v[18:19]
	v_cmp_eq_u32_e64 s[0:1], 0, v34
	v_lshrrev_b64 v[24:25], 20, v[24:25]
	v_lshrrev_b64 v[22:23], 20, v[22:23]
	v_cmp_gt_i32_e32 vcc, 16, v36
	v_cmp_eq_u64_e64 s[8:9], 0, v[20:21]
	v_cmp_gt_i32_e64 s[12:13], 16, v14
	s_and_b64 s[4:5], s[4:5], s[10:11]
	v_min_i32_e32 v28, 15, v36
	v_and_or_b32 v27, v20, 7, v27
	v_and_or_b32 v26, v18, 7, v26
	v_cndmask_b32_e64 v19, 0, v23, s[12:13]
	v_cndmask_b32_e64 v18, 7, v22, s[12:13]
	v_cndmask_b32_e32 v21, 0, v25, vcc
	v_cndmask_b32_e32 v20, 7, v24, vcc
	s_and_b64 s[8:9], s[0:1], s[8:9]
	s_xor_b64 s[12:13], s[4:5], -1
	s_and_b64 s[4:5], s[34:35], s[4:5]
	v_cmp_eq_u32_e64 s[2:3], 0, v36
	v_lshl_or_b32 v28, v28, 3, v45
	v_cmp_eq_u64_e32 vcc, 0, v[20:21]
	v_cmp_eq_u64_e64 s[0:1], 0, v[18:19]
	s_xor_b64 s[10:11], s[8:9], -1
	v_cndmask_b32_e64 v19, v60, v49, s[4:5]
	s_and_b64 s[4:5], s[36:37], s[8:9]
	v_cmp_eq_u32_e64 s[6:7], 0, v14
	v_min_i32_e32 v29, 15, v14
	v_and_or_b32 v14, v20, 7, v28
	v_cndmask_b32_e64 v20, v57, v47, s[4:5]
	s_and_b64 s[2:3], s[2:3], vcc
	s_and_b64 vcc, s[36:37], s[10:11]
	s_and_b64 s[0:1], s[6:7], s[0:1]
	v_cndmask_b32_e32 v20, v20, v27, vcc
	s_and_b64 vcc, s[34:35], s[12:13]
	v_cndmask_b32_e32 v19, v19, v26, vcc
	s_and_b64 vcc, s[14:15], s[0:1]
	s_xor_b64 s[4:5], s[2:3], -1
	v_cndmask_b32_e32 v21, v61, v59, vcc
	s_and_b64 vcc, s[20:21], s[2:3]
	v_lshl_or_b32 v29, v29, 3, v59
	s_xor_b64 s[6:7], s[0:1], -1
	v_cndmask_b32_e32 v22, v35, v45, vcc
	s_and_b64 vcc, s[20:21], s[4:5]
	v_and_or_b32 v18, v18, 7, v29
	v_cndmask_b32_e32 v14, v22, v14, vcc
	s_and_b64 vcc, s[14:15], s[6:7]
	v_lshlrev_b16_e32 v20, 8, v20
	v_cndmask_b32_e32 v18, v21, v18, vcc
	v_lshlrev_b16_e32 v14, 8, v14
	v_or_b32_sdwa v19, v19, v20 dst_sel:DWORD dst_unused:UNUSED_PAD src0_sel:BYTE_0 src1_sel:DWORD
	v_or_b32_sdwa v14, v18, v14 dst_sel:WORD_1 dst_unused:UNUSED_PAD src0_sel:BYTE_0 src1_sel:DWORD
	v_or_b32_sdwa v14, v19, v14 dst_sel:DWORD dst_unused:UNUSED_PAD src0_sel:WORD_0 src1_sel:DWORD
	global_store_dword v[8:9], v14, off
	v_add_co_u32_e32 v8, vcc, s74, v8
	s_or_b64 s[64:65], s[18:19], s[64:65]
	v_addc_co_u32_e32 v9, vcc, v9, v56, vcc
	s_andn2_b64 exec, exec, s[64:65]
	s_cbranch_execnz .LBB2_143
; %bb.144:
	s_or_b64 exec, exec, s[64:65]
	v_mad_u64_u32 v[0:1], s[0:1], v4, s72, v[0:1]
	v_mov_b32_e32 v6, v1
	v_mad_u64_u32 v[6:7], s[0:1], v5, s72, v[6:7]
	v_cmp_ne_u64_e32 vcc, v[2:3], v[4:5]
	s_andn2_b64 s[0:1], s[56:57], exec
	s_and_b64 s[2:3], vcc, exec
	v_mov_b32_e32 v1, v6
	v_pk_mov_b32 v[6:7], s[62:63], s[62:63] op_sel:[0,1]
	v_pk_mov_b32 v[8:9], s[60:61], s[60:61] op_sel:[0,1]
	s_or_b64 s[56:57], s[0:1], s[2:3]
.LBB2_145:
	s_or_b64 exec, exec, s[58:59]
	s_and_b64 exec, exec, s[56:57]
	s_cbranch_execz .LBB2_164
; %bb.146:
	v_lshlrev_b64 v[2:3], 1, v[0:1]
	s_add_u32 s14, s48, s54
	v_mov_b32_e32 v4, s51
	v_add_co_u32_e32 v2, vcc, s50, v2
	s_addc_u32 s15, s49, s55
	v_addc_co_u32_e32 v3, vcc, v4, v3, vcc
	s_lshl_b32 s16, s72, 1
	s_mov_b32 s17, 0
	s_mov_b64 s[2:3], 0
	s_mov_b32 s18, 0x3fb8aa3b
	s_mov_b32 s19, 0x32a5705f
	;; [unrolled: 1-line block ×4, first 2 shown]
	v_mov_b32_e32 v11, 0x7f800000
	v_mov_b32_e32 v5, 0
	s_movk_i32 s22, 0x80
	s_mov_b64 s[4:5], 0x7f800000
	s_mov_b64 s[6:7], 0x43e00001
	s_movk_i32 s23, 0x79
	s_movk_i32 s24, 0x7f
	v_mov_b32_e32 v14, 0x78
	v_mov_b32_e32 v15, 0xffffff89
	s_branch .LBB2_148
.LBB2_147:                              ;   in Loop: Header=BB2_148 Depth=1
	s_or_b64 exec, exec, s[0:1]
	v_mov_b32_e32 v4, s15
	v_add_co_u32_e32 v16, vcc, s14, v0
	v_addc_co_u32_e32 v17, vcc, v4, v1, vcc
	v_mov_b32_e32 v4, s33
	v_add_co_u32_e32 v0, vcc, s72, v0
	v_addc_co_u32_e32 v1, vcc, v1, v4, vcc
	v_cmp_le_i64_e32 vcc, s[52:53], v[0:1]
	v_mov_b32_e32 v4, s17
	s_or_b64 s[2:3], vcc, s[2:3]
	v_add_co_u32_e32 v2, vcc, s16, v2
	v_addc_co_u32_e32 v3, vcc, v3, v4, vcc
	global_store_byte v[16:17], v13, off
	s_andn2_b64 exec, exec, s[2:3]
	s_cbranch_execz .LBB2_164
.LBB2_148:                              ; =>This Inner Loop Header: Depth=1
	v_add_co_u32_e32 v12, vcc, v2, v8
	v_addc_co_u32_e32 v13, vcc, v3, v9, vcc
	global_load_ushort v4, v[12:13], off
	v_add_co_u32_e32 v12, vcc, v2, v6
	v_addc_co_u32_e32 v13, vcc, v3, v7, vcc
	global_load_ushort v12, v[12:13], off
	s_waitcnt vmcnt(1)
	v_cvt_f32_f16_e64 v13, -v4
	v_mul_f32_e32 v16, 0x3fb8aa3b, v13
	v_fma_mix_f32 v17, -v4, s18, -v16 op_sel_hi:[1,0,0]
	v_rndne_f32_e32 v18, v16
	v_fma_mix_f32 v17, -v4, s19, v17 op_sel_hi:[1,0,0]
	v_sub_f32_e32 v16, v16, v18
	v_add_f32_e32 v16, v16, v17
	v_cvt_i32_f32_e32 v18, v18
	v_exp_f32_e32 v16, v16
	v_cvt_f32_f16_e32 v4, v4
	v_cmp_ngt_f32_e32 vcc, s20, v13
	v_ldexp_f32 v16, v16, v18
	v_cndmask_b32_e32 v16, 0, v16, vcc
	v_cmp_nlt_f32_e32 vcc, s21, v13
	v_cndmask_b32_e32 v13, v11, v16, vcc
	v_add_f32_e32 v13, 1.0, v13
	v_div_scale_f32 v16, s[0:1], v13, v13, v4
	v_rcp_f32_e32 v17, v16
	v_div_scale_f32 v18, vcc, v4, v13, v4
	v_fma_f32 v19, -v16, v17, 1.0
	v_fmac_f32_e32 v17, v19, v17
	v_mul_f32_e32 v19, v18, v17
	v_fma_f32 v20, -v16, v19, v18
	v_fmac_f32_e32 v19, v20, v17
	v_fma_f32 v16, -v16, v19, v18
	v_div_fmas_f32 v16, v16, v17, v19
	v_div_fixup_f32 v4, v16, v13, v4
	v_cvt_f16_f32_e32 v4, v4
	v_mov_b32_e32 v19, v5
	s_waitcnt vmcnt(0)
	v_mul_f16_e32 v4, v12, v4
	v_cvt_f32_f16_e32 v4, v4
	v_mul_f32_e32 v4, v10, v4
	v_min_f32_e32 v4, 0x43e00000, v4
	v_max_f32_e32 v12, 0xc3e00000, v4
	v_and_b32_sdwa v16, v12, s22 dst_sel:DWORD dst_unused:UNUSED_PAD src0_sel:BYTE_3 src1_sel:DWORD
	v_and_b32_e32 v18, 0x7f800000, v12
	v_and_b32_e32 v4, 0x7fffff, v12
	v_or_b32_e32 v13, 0x7e, v16
	v_cmp_ne_u64_e32 vcc, s[4:5], v[18:19]
	s_and_saveexec_b64 s[0:1], vcc
	s_xor_b64 s[8:9], exec, s[0:1]
	s_cbranch_execz .LBB2_162
; %bb.149:                              ;   in Loop: Header=BB2_148 Depth=1
	v_and_b32_e32 v18, 0x7fffffff, v12
	v_mov_b32_e32 v19, v5
	v_cmp_gt_u64_e32 vcc, s[6:7], v[18:19]
	s_and_saveexec_b64 s[0:1], vcc
	s_xor_b64 s[10:11], exec, s[0:1]
	s_cbranch_execz .LBB2_161
; %bb.150:                              ;   in Loop: Header=BB2_148 Depth=1
	v_cmp_ne_u32_e32 vcc, 0, v12
	v_mov_b32_e32 v13, 0
	s_and_saveexec_b64 s[12:13], vcc
	s_cbranch_execz .LBB2_160
; %bb.151:                              ;   in Loop: Header=BB2_148 Depth=1
	v_bfe_u32 v12, v12, 23, 8
	v_sub_u32_e64 v13, s23, v12 clamp
	v_cmp_eq_u32_e32 vcc, 0, v12
	v_cndmask_b32_e32 v21, v13, v14, vcc
	v_add_u32_e32 v20, 0xffffff88, v12
	v_add_u32_e32 v12, 20, v21
	v_or_b32_e32 v17, 0x800000, v4
	v_lshlrev_b64 v[12:13], v12, -1
	v_cndmask_b32_e32 v4, v17, v4, vcc
	v_not_b32_e32 v13, v13
	v_not_b32_e32 v12, v12
	v_add_u32_e32 v17, 19, v21
	v_and_b32_e32 v13, 0, v13
	v_and_b32_e32 v12, v4, v12
	v_lshlrev_b64 v[18:19], v17, 1
	v_cmp_eq_u64_e64 s[0:1], v[12:13], v[18:19]
	v_lshrrev_b64 v[12:13], v21, v[4:5]
	v_cndmask_b32_e32 v4, v20, v15, vcc
	v_lshrrev_b32_e32 v17, 23, v12
	v_add3_u32 v17, v4, v21, v17
	v_and_b32_e32 v4, 0x100000, v12
	v_cmp_eq_u64_e32 vcc, 0, v[4:5]
	s_and_b64 vcc, vcc, s[0:1]
	v_subbrev_co_u32_e32 v4, vcc, 0, v12, vcc
	v_and_b32_e32 v4, 0xfffff, v4
	v_add_co_u32_e32 v12, vcc, v4, v12
	v_add_u32_e32 v18, -1, v17
	v_addc_co_u32_e32 v13, vcc, 0, v13, vcc
	v_cmp_ne_u32_e32 vcc, 0, v18
                                        ; implicit-def: $vgpr4
	s_and_saveexec_b64 s[0:1], vcc
	s_xor_b64 s[0:1], exec, s[0:1]
; %bb.152:                              ;   in Loop: Header=BB2_148 Depth=1
	v_and_b32_e32 v4, 0x1000000, v12
	v_cmp_eq_u64_e32 vcc, 0, v[4:5]
	v_cndmask_b32_e32 v4, v17, v18, vcc
	v_bfe_u32 v17, v12, 24, 1
	v_lshrrev_b64 v[12:13], v17, v[12:13]
; %bb.153:                              ;   in Loop: Header=BB2_148 Depth=1
	s_andn2_saveexec_b64 s[0:1], s[0:1]
; %bb.154:                              ;   in Loop: Header=BB2_148 Depth=1
	v_bfe_u32 v4, v12, 23, 1
; %bb.155:                              ;   in Loop: Header=BB2_148 Depth=1
	s_or_b64 exec, exec, s[0:1]
	v_lshrrev_b64 v[12:13], 20, v[12:13]
	v_cmp_gt_i32_e32 vcc, 16, v4
	v_cndmask_b32_e32 v13, 0, v13, vcc
	v_cndmask_b32_e32 v12, 7, v12, vcc
	v_cmp_ne_u32_e32 vcc, 0, v4
	v_cmp_ne_u64_e64 s[0:1], 0, v[12:13]
	s_or_b64 s[0:1], vcc, s[0:1]
                                        ; implicit-def: $vgpr13
	s_and_saveexec_b64 s[26:27], s[0:1]
	s_xor_b64 s[0:1], exec, s[26:27]
; %bb.156:                              ;   in Loop: Header=BB2_148 Depth=1
	v_min_i32_e32 v4, 15, v4
	v_lshl_or_b32 v4, v4, 3, v16
	v_and_or_b32 v13, v12, 7, v4
                                        ; implicit-def: $vgpr16
; %bb.157:                              ;   in Loop: Header=BB2_148 Depth=1
	s_andn2_saveexec_b64 s[0:1], s[0:1]
; %bb.158:                              ;   in Loop: Header=BB2_148 Depth=1
	v_mov_b32_e32 v13, v16
; %bb.159:                              ;   in Loop: Header=BB2_148 Depth=1
	s_or_b64 exec, exec, s[0:1]
.LBB2_160:                              ;   in Loop: Header=BB2_148 Depth=1
	s_or_b64 exec, exec, s[12:13]
.LBB2_161:                              ;   in Loop: Header=BB2_148 Depth=1
	s_andn2_saveexec_b64 s[0:1], s[10:11]
	s_or_b64 exec, exec, s[0:1]
                                        ; implicit-def: $vgpr12
.LBB2_162:                              ;   in Loop: Header=BB2_148 Depth=1
	s_andn2_saveexec_b64 s[0:1], s[8:9]
	s_cbranch_execz .LBB2_147
; %bb.163:                              ;   in Loop: Header=BB2_148 Depth=1
	v_or_b32_sdwa v12, v12, s24 dst_sel:DWORD dst_unused:UNUSED_PAD src0_sel:BYTE_3 src1_sel:DWORD
	v_cmp_eq_u64_e32 vcc, 0, v[4:5]
	v_cndmask_b32_e32 v13, v12, v13, vcc
	s_branch .LBB2_147
.LBB2_164:
	s_endpgm
	.section	.rodata,"a",@progbits
	.p2align	6, 0x0
	.amdhsa_kernel _ZN4vllm24act_and_mul_quant_kernelIN3c104HalfETnPFT_RKS3_EXadL_ZNS_11silu_kernelIS2_EES3_S5_EENS1_13Float8_e4m3fnEEEvPT1_PS4_PKfi
		.amdhsa_group_segment_fixed_size 0
		.amdhsa_private_segment_fixed_size 0
		.amdhsa_kernarg_size 288
		.amdhsa_user_sgpr_count 6
		.amdhsa_user_sgpr_private_segment_buffer 1
		.amdhsa_user_sgpr_dispatch_ptr 0
		.amdhsa_user_sgpr_queue_ptr 0
		.amdhsa_user_sgpr_kernarg_segment_ptr 1
		.amdhsa_user_sgpr_dispatch_id 0
		.amdhsa_user_sgpr_flat_scratch_init 0
		.amdhsa_user_sgpr_kernarg_preload_length 0
		.amdhsa_user_sgpr_kernarg_preload_offset 0
		.amdhsa_user_sgpr_private_segment_size 0
		.amdhsa_uses_dynamic_stack 0
		.amdhsa_system_sgpr_private_segment_wavefront_offset 0
		.amdhsa_system_sgpr_workgroup_id_x 1
		.amdhsa_system_sgpr_workgroup_id_y 1
		.amdhsa_system_sgpr_workgroup_id_z 0
		.amdhsa_system_sgpr_workgroup_info 0
		.amdhsa_system_vgpr_workitem_id 0
		.amdhsa_next_free_vgpr 64
		.amdhsa_next_free_sgpr 84
		.amdhsa_accum_offset 64
		.amdhsa_reserve_vcc 1
		.amdhsa_reserve_flat_scratch 0
		.amdhsa_float_round_mode_32 0
		.amdhsa_float_round_mode_16_64 0
		.amdhsa_float_denorm_mode_32 3
		.amdhsa_float_denorm_mode_16_64 3
		.amdhsa_dx10_clamp 1
		.amdhsa_ieee_mode 1
		.amdhsa_fp16_overflow 0
		.amdhsa_tg_split 0
		.amdhsa_exception_fp_ieee_invalid_op 0
		.amdhsa_exception_fp_denorm_src 0
		.amdhsa_exception_fp_ieee_div_zero 0
		.amdhsa_exception_fp_ieee_overflow 0
		.amdhsa_exception_fp_ieee_underflow 0
		.amdhsa_exception_fp_ieee_inexact 0
		.amdhsa_exception_int_div_zero 0
	.end_amdhsa_kernel
	.section	.text._ZN4vllm24act_and_mul_quant_kernelIN3c104HalfETnPFT_RKS3_EXadL_ZNS_11silu_kernelIS2_EES3_S5_EENS1_13Float8_e4m3fnEEEvPT1_PS4_PKfi,"axG",@progbits,_ZN4vllm24act_and_mul_quant_kernelIN3c104HalfETnPFT_RKS3_EXadL_ZNS_11silu_kernelIS2_EES3_S5_EENS1_13Float8_e4m3fnEEEvPT1_PS4_PKfi,comdat
.Lfunc_end2:
	.size	_ZN4vllm24act_and_mul_quant_kernelIN3c104HalfETnPFT_RKS3_EXadL_ZNS_11silu_kernelIS2_EES3_S5_EENS1_13Float8_e4m3fnEEEvPT1_PS4_PKfi, .Lfunc_end2-_ZN4vllm24act_and_mul_quant_kernelIN3c104HalfETnPFT_RKS3_EXadL_ZNS_11silu_kernelIS2_EES3_S5_EENS1_13Float8_e4m3fnEEEvPT1_PS4_PKfi
                                        ; -- End function
	.section	.AMDGPU.csdata,"",@progbits
; Kernel info:
; codeLenInByte = 10844
; NumSgprs: 88
; NumVgprs: 64
; NumAgprs: 0
; TotalNumVgprs: 64
; ScratchSize: 0
; MemoryBound: 0
; FloatMode: 240
; IeeeMode: 1
; LDSByteSize: 0 bytes/workgroup (compile time only)
; SGPRBlocks: 10
; VGPRBlocks: 7
; NumSGPRsForWavesPerEU: 88
; NumVGPRsForWavesPerEU: 64
; AccumOffset: 64
; Occupancy: 8
; WaveLimiterHint : 0
; COMPUTE_PGM_RSRC2:SCRATCH_EN: 0
; COMPUTE_PGM_RSRC2:USER_SGPR: 6
; COMPUTE_PGM_RSRC2:TRAP_HANDLER: 0
; COMPUTE_PGM_RSRC2:TGID_X_EN: 1
; COMPUTE_PGM_RSRC2:TGID_Y_EN: 1
; COMPUTE_PGM_RSRC2:TGID_Z_EN: 0
; COMPUTE_PGM_RSRC2:TIDIG_COMP_CNT: 0
; COMPUTE_PGM_RSRC3_GFX90A:ACCUM_OFFSET: 15
; COMPUTE_PGM_RSRC3_GFX90A:TG_SPLIT: 0
	.section	.text._ZN4vllm24act_and_mul_quant_kernelIN3c104HalfETnPFT_RKS3_EXadL_ZNS_11silu_kernelIS2_EES3_S5_EENS1_15Float8_e4m3fnuzEEEvPT1_PS4_PKfi,"axG",@progbits,_ZN4vllm24act_and_mul_quant_kernelIN3c104HalfETnPFT_RKS3_EXadL_ZNS_11silu_kernelIS2_EES3_S5_EENS1_15Float8_e4m3fnuzEEEvPT1_PS4_PKfi,comdat
	.protected	_ZN4vllm24act_and_mul_quant_kernelIN3c104HalfETnPFT_RKS3_EXadL_ZNS_11silu_kernelIS2_EES3_S5_EENS1_15Float8_e4m3fnuzEEEvPT1_PS4_PKfi ; -- Begin function _ZN4vllm24act_and_mul_quant_kernelIN3c104HalfETnPFT_RKS3_EXadL_ZNS_11silu_kernelIS2_EES3_S5_EENS1_15Float8_e4m3fnuzEEEvPT1_PS4_PKfi
	.globl	_ZN4vllm24act_and_mul_quant_kernelIN3c104HalfETnPFT_RKS3_EXadL_ZNS_11silu_kernelIS2_EES3_S5_EENS1_15Float8_e4m3fnuzEEEvPT1_PS4_PKfi
	.p2align	8
	.type	_ZN4vllm24act_and_mul_quant_kernelIN3c104HalfETnPFT_RKS3_EXadL_ZNS_11silu_kernelIS2_EES3_S5_EENS1_15Float8_e4m3fnuzEEEvPT1_PS4_PKfi,@function
_ZN4vllm24act_and_mul_quant_kernelIN3c104HalfETnPFT_RKS3_EXadL_ZNS_11silu_kernelIS2_EES3_S5_EENS1_15Float8_e4m3fnuzEEEvPT1_PS4_PKfi: ; @_ZN4vllm24act_and_mul_quant_kernelIN3c104HalfETnPFT_RKS3_EXadL_ZNS_11silu_kernelIS2_EES3_S5_EENS1_15Float8_e4m3fnuzEEEvPT1_PS4_PKfi
; %bb.0:
	s_load_dword s1, s[4:5], 0x24
	s_load_dword s22, s[4:5], 0x18
	s_add_u32 s2, s4, 32
	s_mov_b32 s0, s7
	s_addc_u32 s3, s5, 0
	s_waitcnt lgkmcnt(0)
	s_abs_i32 s7, s1
	v_cvt_f32_u32_e32 v1, s7
	s_sub_i32 s9, 0, s7
	s_add_i32 s8, s22, s1
	s_add_i32 s8, s8, -1
	v_rcp_iflag_f32_e32 v1, v1
	s_xor_b32 s1, s8, s1
	s_abs_i32 s8, s8
	s_ashr_i32 s1, s1, 31
	v_mul_f32_e32 v1, 0x4f7ffffe, v1
	v_cvt_u32_f32_e32 v1, v1
	s_load_dwordx4 s[40:43], s[4:5], 0x0
	v_readfirstlane_b32 s10, v1
	s_mul_i32 s9, s9, s10
	s_mul_hi_u32 s9, s10, s9
	s_add_i32 s10, s10, s9
	s_mul_hi_u32 s9, s8, s10
	s_mul_i32 s10, s9, s7
	s_sub_i32 s8, s8, s10
	s_add_i32 s10, s9, 1
	s_sub_i32 s11, s8, s7
	s_cmp_ge_u32 s8, s7
	s_cselect_b32 s9, s10, s9
	s_cselect_b32 s8, s11, s8
	s_add_i32 s10, s9, 1
	s_cmp_ge_u32 s8, s7
	s_cselect_b32 s7, s10, s9
	s_xor_b32 s7, s7, s1
	s_sub_i32 s1, s7, s1
	s_and_b32 s7, s1, 7
	s_cmp_eq_u32 s7, 0
	s_mov_b32 s7, 0
	s_cbranch_scc1 .LBB3_2
; %bb.1:
	s_ashr_i32 s8, s1, 31
	s_lshr_b32 s8, s8, 29
	s_add_i32 s1, s1, s8
	s_and_b32 s1, s1, -8
	s_add_i32 s1, s1, 8
.LBB3_2:
	s_mul_i32 s8, s1, s0
	s_add_i32 s0, s8, s1
	s_min_i32 s38, s0, s22
	s_abs_i32 s9, s38
	v_cvt_f32_u32_e32 v1, s9
	s_load_dwordx2 s[0:1], s[4:5], 0x10
	s_ashr_i32 s23, s22, 31
	s_mul_hi_u32 s4, s22, s6
	v_rcp_iflag_f32_e32 v1, v1
	s_mul_i32 s5, s23, s6
	s_add_i32 s45, s4, s5
	s_sub_i32 s4, 0, s9
	v_mul_f32_e32 v1, 0x4f7ffffe, v1
	v_cvt_u32_f32_e32 v1, v1
	s_waitcnt lgkmcnt(0)
	s_load_dword s5, s[0:1], 0x0
	s_mul_i32 s44, s22, s6
	v_readfirstlane_b32 s0, v1
	s_mul_i32 s4, s4, s0
	s_mul_hi_u32 s1, s0, s4
	s_add_i32 s0, s0, s1
	s_lshr_b32 s0, s0, 29
	s_mul_i32 s0, s0, s9
	s_sub_i32 s0, 8, s0
	s_sub_i32 s1, s0, s9
	s_cmp_ge_u32 s0, s9
	s_cselect_b32 s0, s1, s0
	s_sub_i32 s1, s0, s9
	s_cmp_ge_u32 s0, s9
	s_cselect_b32 s24, s1, s0
	s_cmp_eq_u32 s24, 0
	s_cselect_b64 s[0:1], -1, 0
	v_cndmask_b32_e64 v11, 0, 1, s[0:1]
	s_waitcnt lgkmcnt(0)
	v_div_scale_f32 v1, s[0:1], s5, s5, 1.0
	v_rcp_f32_e32 v2, v1
	s_ashr_i32 s4, s8, 31
	s_lshr_b32 s0, s4, 29
	s_add_i32 s8, s8, s0
	v_fma_f32 v3, -v1, v2, 1.0
	v_fmac_f32_e32 v2, v3, v2
	v_div_scale_f32 v3, vcc, 1.0, s5, 1.0
	v_mul_f32_e32 v4, v3, v2
	v_fma_f32 v5, -v1, v4, v3
	v_fmac_f32_e32 v4, v5, v2
	s_ashr_i32 s0, s8, 3
	v_fma_f32 v1, -v1, v4, v3
	v_div_fmas_f32 v1, v1, v2, v4
	v_add_u32_e32 v13, s0, v0
	v_div_fixup_f32 v10, v1, s5, 1.0
	v_cmp_lt_i32_e32 vcc, v13, v11
	s_and_saveexec_b64 s[4:5], vcc
	s_cbranch_execz .LBB3_85
; %bb.3:
	s_load_dword s1, s[2:3], 0xc
	s_ashr_i32 s10, s0, 31
	v_add_co_u32_e32 v2, vcc, s0, v0
	v_mov_b32_e32 v1, s10
	s_waitcnt lgkmcnt(0)
	s_and_b32 s26, s1, 0xffff
	s_lshl_b64 s[0:1], s[6:7], 2
	s_or_b32 s0, s0, 2
	s_mul_i32 s10, s0, s23
	s_mul_hi_u32 s11, s0, s22
	v_addc_co_u32_e32 v3, vcc, 0, v1, vcc
	s_add_i32 s10, s11, s10
	s_mul_i32 s1, s1, s22
	s_lshl_b64 s[8:9], s[44:45], 2
	v_lshlrev_b64 v[4:5], 4, v[2:3]
	s_lshl_b32 s27, s26, 4
	s_add_i32 s1, s10, s1
	v_mov_b32_e32 v1, s43
	v_add_co_u32_e32 v12, vcc, s42, v4
	s_mul_i32 s28, s0, s22
	s_add_u32 s0, s40, s44
	v_addc_co_u32_e32 v1, vcc, v1, v5, vcc
	v_lshlrev_b64 v[2:3], 3, v[2:3]
	s_addc_u32 s10, s41, s45
	s_mov_b32 s25, 0
	v_mov_b32_e32 v4, s10
	v_add_co_u32_e32 v14, vcc, s0, v2
	v_addc_co_u32_e32 v15, vcc, v4, v3, vcc
	s_lshl_b32 s29, s26, 3
	s_mov_b32 s30, s25
	s_mov_b64 s[10:11], 0
	v_mov_b32_e32 v28, s9
	v_mov_b32_e32 v29, s1
	s_mov_b32 s9, 0x3fb8aa3b
	s_mov_b32 s31, 0x32a5705f
	;; [unrolled: 1-line block ×4, first 2 shown]
	v_mov_b32_e32 v30, 0x7f800000
	v_mov_b32_e32 v17, 0
	s_movk_i32 s35, 0x7f
	s_mov_b64 s[12:13], 0x7f800000
	s_mov_b64 s[14:15], 0x43700001
	s_movk_i32 s36, 0x78
	s_movk_i32 s37, 0x80
	s_mov_b32 s39, 0xff00
	s_mov_b32 s46, 0x4020c0c
	v_mov_b32_e32 v31, 0x77
	v_mov_b32_e32 v32, 0xffffff8a
	s_branch .LBB3_8
.LBB3_4:                                ;   in Loop: Header=BB3_8 Depth=1
	s_or_b64 exec, exec, s[0:1]
	v_lshrrev_b64 v[4:5], 20, v[4:5]
	v_cmp_gt_i32_e32 vcc, 16, v7
	v_and_b32_sdwa v3, v3, s37 dst_sel:DWORD dst_unused:UNUSED_PAD src0_sel:BYTE_3 src1_sel:DWORD
	v_min_i32_e32 v8, 15, v7
	v_cndmask_b32_e32 v5, 0, v5, vcc
	v_cndmask_b32_e32 v4, 7, v4, vcc
	v_cmp_eq_u32_e32 vcc, 0, v7
	v_cmp_eq_u64_e64 s[0:1], 0, v[4:5]
	v_lshl_or_b32 v3, v8, 3, v3
	v_and_or_b32 v3, v4, 7, v3
	s_and_b64 s[0:1], vcc, s[0:1]
	v_cndmask_b32_e64 v4, v3, 0, s[0:1]
.LBB3_5:                                ;   in Loop: Header=BB3_8 Depth=1
	s_or_b64 exec, exec, s[20:21]
.LBB3_6:                                ;   in Loop: Header=BB3_8 Depth=1
	s_andn2_saveexec_b64 s[0:1], s[18:19]
	s_or_b64 exec, exec, s[0:1]
.LBB3_7:                                ;   in Loop: Header=BB3_8 Depth=1
	s_andn2_saveexec_b64 s[0:1], s[16:17]
	s_or_b64 exec, exec, s[0:1]
	v_lshlrev_b32_e32 v3, 24, v4
	v_lshlrev_b32_e32 v4, 16, v26
	v_and_b32_e32 v4, 0xff0000, v4
	v_or_b32_e32 v3, v3, v4
	v_lshlrev_b32_e32 v4, 8, v24
	v_and_b32_e32 v4, 0xff00, v4
	v_and_b32_e32 v5, 0xff, v6
	v_or3_b32 v3, v3, v4, v5
	v_lshlrev_b32_e32 v4, 16, v22
	v_lshlrev_b32_e32 v5, 8, v20
	v_perm_b32 v2, v2, v4, s46
	v_and_or_b32 v2, v5, s39, v2
	v_or_b32_sdwa v2, v2, v18 dst_sel:DWORD dst_unused:UNUSED_PAD src0_sel:DWORD src1_sel:BYTE_0
	global_store_dwordx2 v[14:15], v[2:3], off
	v_mov_b32_e32 v2, s25
	v_add_co_u32_e32 v12, vcc, s27, v12
	v_add_u32_e32 v13, s26, v13
	v_addc_co_u32_e32 v1, vcc, v1, v2, vcc
	v_cmp_ge_i32_e32 vcc, v13, v11
	v_mov_b32_e32 v2, s30
	s_or_b64 s[10:11], vcc, s[10:11]
	v_add_co_u32_e32 v14, vcc, s29, v14
	v_addc_co_u32_e32 v15, vcc, v15, v2, vcc
	s_andn2_b64 exec, exec, s[10:11]
	s_cbranch_execz .LBB3_85
.LBB3_8:                                ; =>This Inner Loop Header: Depth=1
	v_add_co_u32_e32 v2, vcc, s8, v12
	v_addc_co_u32_e32 v3, vcc, v1, v28, vcc
	global_load_dwordx4 v[6:9], v[2:3], off
	v_add_co_u32_e32 v2, vcc, s28, v12
	v_addc_co_u32_e32 v3, vcc, v1, v29, vcc
	global_load_dwordx4 v[2:5], v[2:3], off
	s_waitcnt vmcnt(1)
	v_cvt_f32_f16_e64 v16, -v6
	v_mul_f32_e32 v18, 0x3fb8aa3b, v16
	v_fma_mix_f32 v19, -v6, s9, -v18 op_sel_hi:[1,0,0]
	v_rndne_f32_e32 v20, v18
	v_fma_mix_f32 v19, -v6, s31, v19 op_sel_hi:[1,0,0]
	v_sub_f32_e32 v18, v18, v20
	v_add_f32_e32 v18, v18, v19
	v_cvt_i32_f32_e32 v20, v20
	v_exp_f32_e32 v18, v18
	v_cvt_f32_f16_e32 v19, v6
	v_cmp_ngt_f32_e32 vcc, s33, v16
	v_ldexp_f32 v18, v18, v20
	v_cndmask_b32_e32 v18, 0, v18, vcc
	v_cmp_nlt_f32_e32 vcc, s34, v16
	v_cndmask_b32_e32 v16, v30, v18, vcc
	v_add_f32_e32 v16, 1.0, v16
	v_div_scale_f32 v18, s[0:1], v16, v16, v19
	v_rcp_f32_e32 v20, v18
	v_div_scale_f32 v21, vcc, v19, v16, v19
	v_fma_f32 v22, -v18, v20, 1.0
	v_fmac_f32_e32 v20, v22, v20
	v_mul_f32_e32 v22, v21, v20
	v_fma_f32 v23, -v18, v22, v21
	v_fmac_f32_e32 v22, v23, v20
	v_fma_f32 v18, -v18, v22, v21
	v_div_fmas_f32 v18, v18, v20, v22
	v_div_fixup_f32 v16, v18, v16, v19
	v_cvt_f16_f32_e32 v16, v16
	s_waitcnt vmcnt(0)
	v_mul_f16_e32 v16, v2, v16
	v_cvt_f32_f16_e32 v16, v16
	v_mul_f32_e32 v16, v10, v16
	v_min_f32_e32 v16, 0x43600000, v16
	v_max_f32_e32 v20, 0xc3600000, v16
	v_and_b32_e32 v16, 0x7f800000, v20
	v_or_b32_sdwa v18, v20, s35 dst_sel:DWORD dst_unused:UNUSED_PAD src0_sel:BYTE_3 src1_sel:DWORD
	v_cmp_ne_u64_e32 vcc, s[12:13], v[16:17]
	s_and_saveexec_b64 s[0:1], vcc
	s_xor_b64 s[16:17], exec, s[0:1]
	s_cbranch_execz .LBB3_18
; %bb.9:                                ;   in Loop: Header=BB3_8 Depth=1
	v_and_b32_e32 v16, 0x7fffffff, v20
	v_cmp_gt_u64_e32 vcc, s[14:15], v[16:17]
	s_and_saveexec_b64 s[0:1], vcc
	s_xor_b64 s[18:19], exec, s[0:1]
	s_cbranch_execz .LBB3_17
; %bb.10:                               ;   in Loop: Header=BB3_8 Depth=1
	v_cmp_ne_u32_e32 vcc, 0, v20
	v_pk_mov_b32 v[18:19], 0, 0
	s_and_saveexec_b64 s[20:21], vcc
	s_cbranch_execz .LBB3_16
; %bb.11:                               ;   in Loop: Header=BB3_8 Depth=1
	v_bfe_u32 v18, v20, 23, 8
	v_sub_u32_e64 v19, s36, v18 clamp
	v_cmp_eq_u32_e32 vcc, 0, v18
	v_cndmask_b32_e32 v25, v19, v31, vcc
	v_and_b32_e32 v16, 0x7fffff, v20
	v_add_u32_e32 v24, 0xffffff89, v18
	v_add_u32_e32 v18, 20, v25
	v_or_b32_e32 v21, 0x800000, v16
	v_lshlrev_b64 v[18:19], v18, -1
	v_cndmask_b32_e32 v16, v21, v16, vcc
	v_not_b32_e32 v18, v18
	v_add_u32_e32 v21, 19, v25
	v_and_b32_e32 v18, v16, v18
	v_mov_b32_e32 v19, v17
	v_lshlrev_b64 v[22:23], v21, 1
	v_cmp_eq_u64_e64 s[0:1], v[18:19], v[22:23]
	v_lshrrev_b64 v[18:19], v25, v[16:17]
	v_cndmask_b32_e32 v16, v24, v32, vcc
	v_lshrrev_b32_e32 v21, 23, v18
	v_add3_u32 v21, v16, v25, v21
	v_and_b32_e32 v16, 0x100000, v18
	v_cmp_eq_u64_e32 vcc, 0, v[16:17]
	s_and_b64 vcc, vcc, s[0:1]
	v_subbrev_co_u32_e32 v16, vcc, 0, v18, vcc
	v_and_b32_e32 v16, 0xfffff, v16
	v_add_co_u32_e32 v18, vcc, v16, v18
	v_add_u32_e32 v22, -1, v21
	v_addc_co_u32_e32 v19, vcc, 0, v19, vcc
	v_cmp_ne_u32_e32 vcc, 0, v22
                                        ; implicit-def: $vgpr16
	s_and_saveexec_b64 s[0:1], vcc
	s_xor_b64 s[0:1], exec, s[0:1]
; %bb.12:                               ;   in Loop: Header=BB3_8 Depth=1
	v_and_b32_e32 v16, 0x1000000, v18
	v_cmp_eq_u64_e32 vcc, 0, v[16:17]
	v_cndmask_b32_e32 v16, v21, v22, vcc
	v_bfe_u32 v21, v18, 24, 1
	v_lshrrev_b64 v[18:19], v21, v[18:19]
; %bb.13:                               ;   in Loop: Header=BB3_8 Depth=1
	s_andn2_saveexec_b64 s[0:1], s[0:1]
; %bb.14:                               ;   in Loop: Header=BB3_8 Depth=1
	v_bfe_u32 v16, v18, 23, 1
; %bb.15:                               ;   in Loop: Header=BB3_8 Depth=1
	s_or_b64 exec, exec, s[0:1]
	v_lshrrev_b64 v[18:19], 20, v[18:19]
	v_cmp_gt_i32_e32 vcc, 16, v16
	v_and_b32_sdwa v20, v20, s37 dst_sel:DWORD dst_unused:UNUSED_PAD src0_sel:BYTE_3 src1_sel:DWORD
	v_min_i32_e32 v21, 15, v16
	v_cndmask_b32_e32 v19, 0, v19, vcc
	v_cndmask_b32_e32 v18, 7, v18, vcc
	v_cmp_eq_u32_e32 vcc, 0, v16
	v_cmp_eq_u64_e64 s[0:1], 0, v[18:19]
	v_lshl_or_b32 v16, v21, 3, v20
	v_and_or_b32 v16, v18, 7, v16
	s_and_b64 s[0:1], vcc, s[0:1]
	v_cndmask_b32_e64 v18, v16, 0, s[0:1]
.LBB3_16:                               ;   in Loop: Header=BB3_8 Depth=1
	s_or_b64 exec, exec, s[20:21]
.LBB3_17:                               ;   in Loop: Header=BB3_8 Depth=1
	s_andn2_saveexec_b64 s[0:1], s[18:19]
	s_or_b64 exec, exec, s[0:1]
.LBB3_18:                               ;   in Loop: Header=BB3_8 Depth=1
	s_andn2_saveexec_b64 s[0:1], s[16:17]
	s_or_b64 exec, exec, s[0:1]
	v_cvt_f32_f16_sdwa v16, -v6 dst_sel:DWORD dst_unused:UNUSED_PAD src0_sel:WORD_1
	v_mul_f32_e32 v19, 0x3fb8aa3b, v16
	v_rndne_f32_e32 v20, v19
	v_fma_mix_f32 v21, -v6, s9, -v19 op_sel:[1,0,0] op_sel_hi:[1,0,0]
	v_sub_f32_e32 v19, v19, v20
	v_fma_mix_f32 v21, -v6, s31, v21 op_sel:[1,0,0] op_sel_hi:[1,0,0]
	v_add_f32_e32 v19, v19, v21
	v_cvt_i32_f32_e32 v20, v20
	v_exp_f32_e32 v19, v19
	v_cvt_f32_f16_sdwa v6, v6 dst_sel:DWORD dst_unused:UNUSED_PAD src0_sel:WORD_1
	v_cmp_ngt_f32_e32 vcc, s33, v16
	v_ldexp_f32 v19, v19, v20
	v_cndmask_b32_e32 v19, 0, v19, vcc
	v_cmp_nlt_f32_e32 vcc, s34, v16
	v_cndmask_b32_e32 v16, v30, v19, vcc
	v_add_f32_e32 v16, 1.0, v16
	v_div_scale_f32 v19, s[0:1], v16, v16, v6
	v_rcp_f32_e32 v20, v19
	v_div_scale_f32 v21, vcc, v6, v16, v6
	v_fma_f32 v22, -v19, v20, 1.0
	v_fmac_f32_e32 v20, v22, v20
	v_mul_f32_e32 v22, v21, v20
	v_fma_f32 v23, -v19, v22, v21
	v_fmac_f32_e32 v22, v23, v20
	v_fma_f32 v19, -v19, v22, v21
	v_div_fmas_f32 v19, v19, v20, v22
	v_div_fixup_f32 v6, v19, v16, v6
	v_cvt_f16_f32_e32 v6, v6
	v_mul_f16_sdwa v2, v2, v6 dst_sel:DWORD dst_unused:UNUSED_PAD src0_sel:WORD_1 src1_sel:DWORD
	v_cvt_f32_f16_e32 v2, v2
	v_mul_f32_e32 v2, v10, v2
	v_min_f32_e32 v2, 0x43600000, v2
	v_max_f32_e32 v2, 0xc3600000, v2
	v_and_b32_e32 v16, 0x7f800000, v2
	v_or_b32_sdwa v20, v2, s35 dst_sel:DWORD dst_unused:UNUSED_PAD src0_sel:BYTE_3 src1_sel:DWORD
	v_cmp_ne_u64_e32 vcc, s[12:13], v[16:17]
	s_and_saveexec_b64 s[0:1], vcc
	s_xor_b64 s[16:17], exec, s[0:1]
	s_cbranch_execz .LBB3_28
; %bb.19:                               ;   in Loop: Header=BB3_8 Depth=1
	v_and_b32_e32 v16, 0x7fffffff, v2
	v_cmp_gt_u64_e32 vcc, s[14:15], v[16:17]
	s_and_saveexec_b64 s[0:1], vcc
	s_xor_b64 s[18:19], exec, s[0:1]
	s_cbranch_execz .LBB3_27
; %bb.20:                               ;   in Loop: Header=BB3_8 Depth=1
	v_cmp_ne_u32_e32 vcc, 0, v2
	v_pk_mov_b32 v[20:21], 0, 0
	s_and_saveexec_b64 s[20:21], vcc
	s_cbranch_execz .LBB3_26
; %bb.21:                               ;   in Loop: Header=BB3_8 Depth=1
	v_bfe_u32 v16, v2, 23, 8
	v_and_b32_e32 v6, 0x7fffff, v2
	v_sub_u32_e64 v19, s36, v16 clamp
	v_cmp_eq_u32_e32 vcc, 0, v16
	v_or_b32_e32 v20, 0x800000, v6
	v_cndmask_b32_e32 v19, v19, v31, vcc
	v_add_u32_e32 v24, 0xffffff89, v16
	v_cndmask_b32_e32 v16, v20, v6, vcc
	v_add_u32_e32 v6, 20, v19
	v_lshlrev_b64 v[20:21], v6, -1
	v_not_b32_e32 v6, v20
	v_and_b32_e32 v20, v16, v6
	v_add_u32_e32 v6, 19, v19
	v_mov_b32_e32 v21, v17
	v_lshlrev_b64 v[22:23], v6, 1
	v_cmp_eq_u64_e64 s[0:1], v[20:21], v[22:23]
	v_lshrrev_b64 v[20:21], v19, v[16:17]
	v_cndmask_b32_e32 v6, v24, v32, vcc
	v_lshrrev_b32_e32 v16, 23, v20
	v_add3_u32 v19, v6, v19, v16
	v_and_b32_e32 v16, 0x100000, v20
	v_cmp_eq_u64_e32 vcc, 0, v[16:17]
	s_and_b64 vcc, vcc, s[0:1]
	v_subbrev_co_u32_e32 v6, vcc, 0, v20, vcc
	v_and_b32_e32 v6, 0xfffff, v6
	v_add_co_u32_e32 v20, vcc, v6, v20
	v_add_u32_e32 v22, -1, v19
	v_addc_co_u32_e32 v21, vcc, 0, v21, vcc
	v_cmp_ne_u32_e32 vcc, 0, v22
                                        ; implicit-def: $vgpr6
	s_and_saveexec_b64 s[0:1], vcc
	s_xor_b64 s[0:1], exec, s[0:1]
; %bb.22:                               ;   in Loop: Header=BB3_8 Depth=1
	v_and_b32_e32 v16, 0x1000000, v20
	v_cmp_eq_u64_e32 vcc, 0, v[16:17]
	v_bfe_u32 v16, v20, 24, 1
	v_cndmask_b32_e32 v6, v19, v22, vcc
	v_lshrrev_b64 v[20:21], v16, v[20:21]
; %bb.23:                               ;   in Loop: Header=BB3_8 Depth=1
	s_andn2_saveexec_b64 s[0:1], s[0:1]
; %bb.24:                               ;   in Loop: Header=BB3_8 Depth=1
	v_bfe_u32 v6, v20, 23, 1
; %bb.25:                               ;   in Loop: Header=BB3_8 Depth=1
	s_or_b64 exec, exec, s[0:1]
	v_lshrrev_b64 v[20:21], 20, v[20:21]
	v_cmp_gt_i32_e32 vcc, 16, v6
	v_and_b32_sdwa v2, v2, s37 dst_sel:DWORD dst_unused:UNUSED_PAD src0_sel:BYTE_3 src1_sel:DWORD
	v_min_i32_e32 v16, 15, v6
	v_cndmask_b32_e32 v21, 0, v21, vcc
	v_cndmask_b32_e32 v20, 7, v20, vcc
	v_cmp_eq_u32_e32 vcc, 0, v6
	v_cmp_eq_u64_e64 s[0:1], 0, v[20:21]
	v_lshl_or_b32 v2, v16, 3, v2
	v_and_or_b32 v2, v20, 7, v2
	s_and_b64 s[0:1], vcc, s[0:1]
	v_cndmask_b32_e64 v20, v2, 0, s[0:1]
.LBB3_26:                               ;   in Loop: Header=BB3_8 Depth=1
	s_or_b64 exec, exec, s[20:21]
.LBB3_27:                               ;   in Loop: Header=BB3_8 Depth=1
	s_andn2_saveexec_b64 s[0:1], s[18:19]
	s_or_b64 exec, exec, s[0:1]
.LBB3_28:                               ;   in Loop: Header=BB3_8 Depth=1
	s_andn2_saveexec_b64 s[0:1], s[16:17]
	s_or_b64 exec, exec, s[0:1]
	v_cvt_f32_f16_e64 v2, -v7
	v_mul_f32_e32 v6, 0x3fb8aa3b, v2
	v_rndne_f32_e32 v16, v6
	v_fma_mix_f32 v19, -v7, s9, -v6 op_sel_hi:[1,0,0]
	v_sub_f32_e32 v6, v6, v16
	v_fma_mix_f32 v19, -v7, s31, v19 op_sel_hi:[1,0,0]
	v_add_f32_e32 v6, v6, v19
	v_cvt_i32_f32_e32 v16, v16
	v_exp_f32_e32 v6, v6
	v_cvt_f32_f16_e32 v19, v7
	v_cmp_ngt_f32_e32 vcc, s33, v2
	v_ldexp_f32 v6, v6, v16
	v_cndmask_b32_e32 v6, 0, v6, vcc
	v_cmp_nlt_f32_e32 vcc, s34, v2
	v_cndmask_b32_e32 v2, v30, v6, vcc
	v_add_f32_e32 v2, 1.0, v2
	v_div_scale_f32 v6, s[0:1], v2, v2, v19
	v_rcp_f32_e32 v16, v6
	v_div_scale_f32 v21, vcc, v19, v2, v19
	v_fma_f32 v22, -v6, v16, 1.0
	v_fmac_f32_e32 v16, v22, v16
	v_mul_f32_e32 v22, v21, v16
	v_fma_f32 v23, -v6, v22, v21
	v_fmac_f32_e32 v22, v23, v16
	v_fma_f32 v6, -v6, v22, v21
	v_div_fmas_f32 v6, v6, v16, v22
	v_div_fixup_f32 v2, v6, v2, v19
	v_cvt_f16_f32_e32 v2, v2
	v_mul_f16_e32 v2, v3, v2
	v_cvt_f32_f16_e32 v2, v2
	v_mul_f32_e32 v2, v10, v2
	v_min_f32_e32 v2, 0x43600000, v2
	v_max_f32_e32 v2, 0xc3600000, v2
	v_and_b32_e32 v16, 0x7f800000, v2
	v_or_b32_sdwa v22, v2, s35 dst_sel:DWORD dst_unused:UNUSED_PAD src0_sel:BYTE_3 src1_sel:DWORD
	v_cmp_ne_u64_e32 vcc, s[12:13], v[16:17]
	s_and_saveexec_b64 s[0:1], vcc
	s_xor_b64 s[16:17], exec, s[0:1]
	s_cbranch_execz .LBB3_38
; %bb.29:                               ;   in Loop: Header=BB3_8 Depth=1
	v_and_b32_e32 v16, 0x7fffffff, v2
	v_cmp_gt_u64_e32 vcc, s[14:15], v[16:17]
	s_and_saveexec_b64 s[0:1], vcc
	s_xor_b64 s[18:19], exec, s[0:1]
	s_cbranch_execz .LBB3_37
; %bb.30:                               ;   in Loop: Header=BB3_8 Depth=1
	v_cmp_ne_u32_e32 vcc, 0, v2
	v_pk_mov_b32 v[22:23], 0, 0
	s_and_saveexec_b64 s[20:21], vcc
	s_cbranch_execz .LBB3_36
; %bb.31:                               ;   in Loop: Header=BB3_8 Depth=1
	v_bfe_u32 v16, v2, 23, 8
	v_and_b32_e32 v6, 0x7fffff, v2
	v_sub_u32_e64 v19, s36, v16 clamp
	v_cmp_eq_u32_e32 vcc, 0, v16
	v_or_b32_e32 v21, 0x800000, v6
	v_cndmask_b32_e32 v19, v19, v31, vcc
	v_add_u32_e32 v26, 0xffffff89, v16
	v_cndmask_b32_e32 v16, v21, v6, vcc
	v_add_u32_e32 v6, 20, v19
	v_lshlrev_b64 v[22:23], v6, -1
	v_not_b32_e32 v6, v22
	v_and_b32_e32 v22, v16, v6
	v_add_u32_e32 v6, 19, v19
	v_mov_b32_e32 v23, v17
	v_lshlrev_b64 v[24:25], v6, 1
	v_cmp_eq_u64_e64 s[0:1], v[22:23], v[24:25]
	v_lshrrev_b64 v[22:23], v19, v[16:17]
	v_cndmask_b32_e32 v6, v26, v32, vcc
	v_lshrrev_b32_e32 v16, 23, v22
	v_add3_u32 v19, v6, v19, v16
	v_and_b32_e32 v16, 0x100000, v22
	v_cmp_eq_u64_e32 vcc, 0, v[16:17]
	s_and_b64 vcc, vcc, s[0:1]
	v_subbrev_co_u32_e32 v6, vcc, 0, v22, vcc
	v_and_b32_e32 v6, 0xfffff, v6
	v_add_co_u32_e32 v22, vcc, v6, v22
	v_add_u32_e32 v21, -1, v19
	v_addc_co_u32_e32 v23, vcc, 0, v23, vcc
	v_cmp_ne_u32_e32 vcc, 0, v21
                                        ; implicit-def: $vgpr6
	s_and_saveexec_b64 s[0:1], vcc
	s_xor_b64 s[0:1], exec, s[0:1]
; %bb.32:                               ;   in Loop: Header=BB3_8 Depth=1
	v_and_b32_e32 v16, 0x1000000, v22
	v_cmp_eq_u64_e32 vcc, 0, v[16:17]
	v_bfe_u32 v16, v22, 24, 1
	v_cndmask_b32_e32 v6, v19, v21, vcc
	v_lshrrev_b64 v[22:23], v16, v[22:23]
; %bb.33:                               ;   in Loop: Header=BB3_8 Depth=1
	s_andn2_saveexec_b64 s[0:1], s[0:1]
; %bb.34:                               ;   in Loop: Header=BB3_8 Depth=1
	v_bfe_u32 v6, v22, 23, 1
; %bb.35:                               ;   in Loop: Header=BB3_8 Depth=1
	s_or_b64 exec, exec, s[0:1]
	v_lshrrev_b64 v[22:23], 20, v[22:23]
	v_cmp_gt_i32_e32 vcc, 16, v6
	v_and_b32_sdwa v2, v2, s37 dst_sel:DWORD dst_unused:UNUSED_PAD src0_sel:BYTE_3 src1_sel:DWORD
	v_min_i32_e32 v16, 15, v6
	v_cndmask_b32_e32 v23, 0, v23, vcc
	v_cndmask_b32_e32 v22, 7, v22, vcc
	v_cmp_eq_u32_e32 vcc, 0, v6
	v_cmp_eq_u64_e64 s[0:1], 0, v[22:23]
	v_lshl_or_b32 v2, v16, 3, v2
	v_and_or_b32 v2, v22, 7, v2
	s_and_b64 s[0:1], vcc, s[0:1]
	v_cndmask_b32_e64 v22, v2, 0, s[0:1]
.LBB3_36:                               ;   in Loop: Header=BB3_8 Depth=1
	s_or_b64 exec, exec, s[20:21]
.LBB3_37:                               ;   in Loop: Header=BB3_8 Depth=1
	s_andn2_saveexec_b64 s[0:1], s[18:19]
	s_or_b64 exec, exec, s[0:1]
.LBB3_38:                               ;   in Loop: Header=BB3_8 Depth=1
	s_andn2_saveexec_b64 s[0:1], s[16:17]
	s_or_b64 exec, exec, s[0:1]
	v_cvt_f32_f16_sdwa v2, -v7 dst_sel:DWORD dst_unused:UNUSED_PAD src0_sel:WORD_1
	v_mul_f32_e32 v6, 0x3fb8aa3b, v2
	v_rndne_f32_e32 v16, v6
	v_fma_mix_f32 v19, -v7, s9, -v6 op_sel:[1,0,0] op_sel_hi:[1,0,0]
	v_sub_f32_e32 v6, v6, v16
	v_fma_mix_f32 v19, -v7, s31, v19 op_sel:[1,0,0] op_sel_hi:[1,0,0]
	v_add_f32_e32 v6, v6, v19
	v_cvt_i32_f32_e32 v16, v16
	v_exp_f32_e32 v6, v6
	v_cvt_f32_f16_sdwa v7, v7 dst_sel:DWORD dst_unused:UNUSED_PAD src0_sel:WORD_1
	v_cmp_ngt_f32_e32 vcc, s33, v2
	v_ldexp_f32 v6, v6, v16
	v_cndmask_b32_e32 v6, 0, v6, vcc
	v_cmp_nlt_f32_e32 vcc, s34, v2
	v_cndmask_b32_e32 v2, v30, v6, vcc
	v_add_f32_e32 v2, 1.0, v2
	v_div_scale_f32 v6, s[0:1], v2, v2, v7
	v_rcp_f32_e32 v16, v6
	v_div_scale_f32 v19, vcc, v7, v2, v7
	v_fma_f32 v21, -v6, v16, 1.0
	v_fmac_f32_e32 v16, v21, v16
	v_mul_f32_e32 v21, v19, v16
	v_fma_f32 v23, -v6, v21, v19
	v_fmac_f32_e32 v21, v23, v16
	v_fma_f32 v6, -v6, v21, v19
	v_div_fmas_f32 v6, v6, v16, v21
	v_div_fixup_f32 v2, v6, v2, v7
	v_cvt_f16_f32_e32 v2, v2
	v_mul_f16_sdwa v2, v3, v2 dst_sel:DWORD dst_unused:UNUSED_PAD src0_sel:WORD_1 src1_sel:DWORD
	v_cvt_f32_f16_e32 v2, v2
	v_mul_f32_e32 v2, v10, v2
	v_min_f32_e32 v2, 0x43600000, v2
	v_max_f32_e32 v6, 0xc3600000, v2
	v_and_b32_e32 v16, 0x7f800000, v6
	v_or_b32_sdwa v2, v6, s35 dst_sel:DWORD dst_unused:UNUSED_PAD src0_sel:BYTE_3 src1_sel:DWORD
	v_cmp_ne_u64_e32 vcc, s[12:13], v[16:17]
	s_and_saveexec_b64 s[0:1], vcc
	s_xor_b64 s[16:17], exec, s[0:1]
	s_cbranch_execz .LBB3_48
; %bb.39:                               ;   in Loop: Header=BB3_8 Depth=1
	v_and_b32_e32 v16, 0x7fffffff, v6
	v_cmp_gt_u64_e32 vcc, s[14:15], v[16:17]
	s_and_saveexec_b64 s[0:1], vcc
	s_xor_b64 s[18:19], exec, s[0:1]
	s_cbranch_execz .LBB3_47
; %bb.40:                               ;   in Loop: Header=BB3_8 Depth=1
	v_cmp_ne_u32_e32 vcc, 0, v6
	v_pk_mov_b32 v[2:3], 0, 0
	s_and_saveexec_b64 s[20:21], vcc
	s_cbranch_execz .LBB3_46
; %bb.41:                               ;   in Loop: Header=BB3_8 Depth=1
	v_bfe_u32 v3, v6, 23, 8
	v_and_b32_e32 v2, 0x7fffff, v6
	v_sub_u32_e64 v7, s36, v3 clamp
	v_cmp_eq_u32_e32 vcc, 0, v3
	v_or_b32_e32 v16, 0x800000, v2
	v_cndmask_b32_e32 v7, v7, v31, vcc
	v_cndmask_b32_e32 v16, v16, v2, vcc
	v_add_u32_e32 v2, 20, v7
	v_add_u32_e32 v19, 0xffffff89, v3
	v_lshlrev_b64 v[2:3], v2, -1
	v_not_b32_e32 v2, v2
	v_add_u32_e32 v21, 19, v7
	v_and_b32_e32 v2, v16, v2
	v_mov_b32_e32 v3, v17
	v_lshlrev_b64 v[24:25], v21, 1
	v_cmp_eq_u64_e64 s[0:1], v[2:3], v[24:25]
	v_lshrrev_b64 v[2:3], v7, v[16:17]
	v_cndmask_b32_e32 v16, v19, v32, vcc
	v_lshrrev_b32_e32 v19, 23, v2
	v_add3_u32 v19, v16, v7, v19
	v_and_b32_e32 v16, 0x100000, v2
	v_cmp_eq_u64_e32 vcc, 0, v[16:17]
	s_and_b64 vcc, vcc, s[0:1]
	v_subbrev_co_u32_e32 v7, vcc, 0, v2, vcc
	v_and_b32_e32 v7, 0xfffff, v7
	v_add_co_u32_e32 v2, vcc, v7, v2
	v_add_u32_e32 v21, -1, v19
	v_addc_co_u32_e32 v3, vcc, 0, v3, vcc
	v_cmp_ne_u32_e32 vcc, 0, v21
                                        ; implicit-def: $vgpr7
	s_and_saveexec_b64 s[0:1], vcc
	s_xor_b64 s[0:1], exec, s[0:1]
; %bb.42:                               ;   in Loop: Header=BB3_8 Depth=1
	v_and_b32_e32 v16, 0x1000000, v2
	v_cmp_eq_u64_e32 vcc, 0, v[16:17]
	v_bfe_u32 v16, v2, 24, 1
	v_cndmask_b32_e32 v7, v19, v21, vcc
	v_lshrrev_b64 v[2:3], v16, v[2:3]
; %bb.43:                               ;   in Loop: Header=BB3_8 Depth=1
	s_andn2_saveexec_b64 s[0:1], s[0:1]
; %bb.44:                               ;   in Loop: Header=BB3_8 Depth=1
	v_bfe_u32 v7, v2, 23, 1
; %bb.45:                               ;   in Loop: Header=BB3_8 Depth=1
	s_or_b64 exec, exec, s[0:1]
	v_lshrrev_b64 v[2:3], 20, v[2:3]
	v_cmp_gt_i32_e32 vcc, 16, v7
	v_and_b32_sdwa v6, v6, s37 dst_sel:DWORD dst_unused:UNUSED_PAD src0_sel:BYTE_3 src1_sel:DWORD
	v_min_i32_e32 v16, 15, v7
	v_cndmask_b32_e32 v3, 0, v3, vcc
	v_cndmask_b32_e32 v2, 7, v2, vcc
	v_cmp_eq_u32_e32 vcc, 0, v7
	v_cmp_eq_u64_e64 s[0:1], 0, v[2:3]
	v_lshl_or_b32 v3, v16, 3, v6
	v_and_or_b32 v2, v2, 7, v3
	s_and_b64 s[0:1], vcc, s[0:1]
	v_cndmask_b32_e64 v2, v2, 0, s[0:1]
.LBB3_46:                               ;   in Loop: Header=BB3_8 Depth=1
	s_or_b64 exec, exec, s[20:21]
.LBB3_47:                               ;   in Loop: Header=BB3_8 Depth=1
	s_andn2_saveexec_b64 s[0:1], s[18:19]
	s_or_b64 exec, exec, s[0:1]
.LBB3_48:                               ;   in Loop: Header=BB3_8 Depth=1
	s_andn2_saveexec_b64 s[0:1], s[16:17]
	s_or_b64 exec, exec, s[0:1]
	v_cvt_f32_f16_e64 v3, -v8
	v_mul_f32_e32 v6, 0x3fb8aa3b, v3
	v_rndne_f32_e32 v7, v6
	v_fma_mix_f32 v16, -v8, s9, -v6 op_sel_hi:[1,0,0]
	v_sub_f32_e32 v6, v6, v7
	v_fma_mix_f32 v16, -v8, s31, v16 op_sel_hi:[1,0,0]
	v_add_f32_e32 v6, v6, v16
	v_cvt_i32_f32_e32 v7, v7
	v_exp_f32_e32 v6, v6
	v_cvt_f32_f16_e32 v16, v8
	v_cmp_ngt_f32_e32 vcc, s33, v3
	v_ldexp_f32 v6, v6, v7
	v_cndmask_b32_e32 v6, 0, v6, vcc
	v_cmp_nlt_f32_e32 vcc, s34, v3
	v_cndmask_b32_e32 v3, v30, v6, vcc
	v_add_f32_e32 v3, 1.0, v3
	v_div_scale_f32 v6, s[0:1], v3, v3, v16
	v_rcp_f32_e32 v7, v6
	v_div_scale_f32 v19, vcc, v16, v3, v16
	v_fma_f32 v21, -v6, v7, 1.0
	v_fmac_f32_e32 v7, v21, v7
	v_mul_f32_e32 v21, v19, v7
	v_fma_f32 v23, -v6, v21, v19
	v_fmac_f32_e32 v21, v23, v7
	v_fma_f32 v6, -v6, v21, v19
	v_div_fmas_f32 v6, v6, v7, v21
	v_div_fixup_f32 v3, v6, v3, v16
	v_cvt_f16_f32_e32 v3, v3
	v_mul_f16_e32 v3, v4, v3
	v_cvt_f32_f16_e32 v3, v3
	v_mul_f32_e32 v3, v10, v3
	v_min_f32_e32 v3, 0x43600000, v3
	v_max_f32_e32 v3, 0xc3600000, v3
	v_and_b32_e32 v16, 0x7f800000, v3
	v_or_b32_sdwa v6, v3, s35 dst_sel:DWORD dst_unused:UNUSED_PAD src0_sel:BYTE_3 src1_sel:DWORD
	v_cmp_ne_u64_e32 vcc, s[12:13], v[16:17]
	s_and_saveexec_b64 s[0:1], vcc
	s_xor_b64 s[16:17], exec, s[0:1]
	s_cbranch_execz .LBB3_58
; %bb.49:                               ;   in Loop: Header=BB3_8 Depth=1
	v_and_b32_e32 v16, 0x7fffffff, v3
	v_cmp_gt_u64_e32 vcc, s[14:15], v[16:17]
	s_and_saveexec_b64 s[0:1], vcc
	s_xor_b64 s[18:19], exec, s[0:1]
	s_cbranch_execz .LBB3_57
; %bb.50:                               ;   in Loop: Header=BB3_8 Depth=1
	v_cmp_ne_u32_e32 vcc, 0, v3
	v_pk_mov_b32 v[6:7], 0, 0
	s_and_saveexec_b64 s[20:21], vcc
	s_cbranch_execz .LBB3_56
; %bb.51:                               ;   in Loop: Header=BB3_8 Depth=1
	v_bfe_u32 v7, v3, 23, 8
	v_and_b32_e32 v6, 0x7fffff, v3
	v_sub_u32_e64 v16, s36, v7 clamp
	v_cmp_eq_u32_e32 vcc, 0, v7
	v_or_b32_e32 v19, 0x800000, v6
	v_cndmask_b32_e32 v23, v16, v31, vcc
	v_cndmask_b32_e32 v16, v19, v6, vcc
	v_add_u32_e32 v6, 20, v23
	v_add_u32_e32 v21, 0xffffff89, v7
	v_lshlrev_b64 v[6:7], v6, -1
	v_not_b32_e32 v6, v6
	v_add_u32_e32 v19, 19, v23
	v_and_b32_e32 v6, v16, v6
	v_mov_b32_e32 v7, v17
	v_lshlrev_b64 v[24:25], v19, 1
	v_cmp_eq_u64_e64 s[0:1], v[6:7], v[24:25]
	v_lshrrev_b64 v[6:7], v23, v[16:17]
	v_cndmask_b32_e32 v16, v21, v32, vcc
	v_lshrrev_b32_e32 v19, 23, v6
	v_add3_u32 v19, v16, v23, v19
	v_and_b32_e32 v16, 0x100000, v6
	v_cmp_eq_u64_e32 vcc, 0, v[16:17]
	s_and_b64 vcc, vcc, s[0:1]
	v_subbrev_co_u32_e32 v16, vcc, 0, v6, vcc
	v_and_b32_e32 v16, 0xfffff, v16
	v_add_co_u32_e32 v6, vcc, v16, v6
	v_add_u32_e32 v21, -1, v19
	v_addc_co_u32_e32 v7, vcc, 0, v7, vcc
	v_cmp_ne_u32_e32 vcc, 0, v21
                                        ; implicit-def: $vgpr16
	s_and_saveexec_b64 s[0:1], vcc
	s_xor_b64 s[0:1], exec, s[0:1]
; %bb.52:                               ;   in Loop: Header=BB3_8 Depth=1
	v_and_b32_e32 v16, 0x1000000, v6
	v_cmp_eq_u64_e32 vcc, 0, v[16:17]
	v_cndmask_b32_e32 v16, v19, v21, vcc
	v_bfe_u32 v19, v6, 24, 1
	v_lshrrev_b64 v[6:7], v19, v[6:7]
; %bb.53:                               ;   in Loop: Header=BB3_8 Depth=1
	s_andn2_saveexec_b64 s[0:1], s[0:1]
; %bb.54:                               ;   in Loop: Header=BB3_8 Depth=1
	v_bfe_u32 v16, v6, 23, 1
; %bb.55:                               ;   in Loop: Header=BB3_8 Depth=1
	s_or_b64 exec, exec, s[0:1]
	v_lshrrev_b64 v[6:7], 20, v[6:7]
	v_cmp_gt_i32_e32 vcc, 16, v16
	v_and_b32_sdwa v3, v3, s37 dst_sel:DWORD dst_unused:UNUSED_PAD src0_sel:BYTE_3 src1_sel:DWORD
	v_min_i32_e32 v19, 15, v16
	v_cndmask_b32_e32 v7, 0, v7, vcc
	v_cndmask_b32_e32 v6, 7, v6, vcc
	v_cmp_eq_u32_e32 vcc, 0, v16
	v_cmp_eq_u64_e64 s[0:1], 0, v[6:7]
	v_lshl_or_b32 v3, v19, 3, v3
	v_and_or_b32 v3, v6, 7, v3
	s_and_b64 s[0:1], vcc, s[0:1]
	v_cndmask_b32_e64 v6, v3, 0, s[0:1]
.LBB3_56:                               ;   in Loop: Header=BB3_8 Depth=1
	s_or_b64 exec, exec, s[20:21]
.LBB3_57:                               ;   in Loop: Header=BB3_8 Depth=1
	s_andn2_saveexec_b64 s[0:1], s[18:19]
	s_or_b64 exec, exec, s[0:1]
.LBB3_58:                               ;   in Loop: Header=BB3_8 Depth=1
	s_andn2_saveexec_b64 s[0:1], s[16:17]
	s_or_b64 exec, exec, s[0:1]
	v_cvt_f32_f16_sdwa v3, -v8 dst_sel:DWORD dst_unused:UNUSED_PAD src0_sel:WORD_1
	v_mul_f32_e32 v7, 0x3fb8aa3b, v3
	v_rndne_f32_e32 v16, v7
	v_fma_mix_f32 v19, -v8, s9, -v7 op_sel:[1,0,0] op_sel_hi:[1,0,0]
	v_sub_f32_e32 v7, v7, v16
	v_fma_mix_f32 v19, -v8, s31, v19 op_sel:[1,0,0] op_sel_hi:[1,0,0]
	v_add_f32_e32 v7, v7, v19
	v_cvt_i32_f32_e32 v16, v16
	v_exp_f32_e32 v7, v7
	v_cvt_f32_f16_sdwa v8, v8 dst_sel:DWORD dst_unused:UNUSED_PAD src0_sel:WORD_1
	v_cmp_ngt_f32_e32 vcc, s33, v3
	v_ldexp_f32 v7, v7, v16
	v_cndmask_b32_e32 v7, 0, v7, vcc
	v_cmp_nlt_f32_e32 vcc, s34, v3
	v_cndmask_b32_e32 v3, v30, v7, vcc
	v_add_f32_e32 v3, 1.0, v3
	v_div_scale_f32 v7, s[0:1], v3, v3, v8
	v_rcp_f32_e32 v16, v7
	v_div_scale_f32 v19, vcc, v8, v3, v8
	v_fma_f32 v21, -v7, v16, 1.0
	v_fmac_f32_e32 v16, v21, v16
	v_mul_f32_e32 v21, v19, v16
	v_fma_f32 v23, -v7, v21, v19
	v_fmac_f32_e32 v21, v23, v16
	v_fma_f32 v7, -v7, v21, v19
	v_div_fmas_f32 v7, v7, v16, v21
	v_div_fixup_f32 v3, v7, v3, v8
	v_cvt_f16_f32_e32 v3, v3
	v_mul_f16_sdwa v3, v4, v3 dst_sel:DWORD dst_unused:UNUSED_PAD src0_sel:WORD_1 src1_sel:DWORD
	v_cvt_f32_f16_e32 v3, v3
	v_mul_f32_e32 v3, v10, v3
	v_min_f32_e32 v3, 0x43600000, v3
	v_max_f32_e32 v3, 0xc3600000, v3
	v_and_b32_e32 v16, 0x7f800000, v3
	v_or_b32_sdwa v24, v3, s35 dst_sel:DWORD dst_unused:UNUSED_PAD src0_sel:BYTE_3 src1_sel:DWORD
	v_cmp_ne_u64_e32 vcc, s[12:13], v[16:17]
	s_and_saveexec_b64 s[0:1], vcc
	s_xor_b64 s[16:17], exec, s[0:1]
	s_cbranch_execz .LBB3_68
; %bb.59:                               ;   in Loop: Header=BB3_8 Depth=1
	v_and_b32_e32 v16, 0x7fffffff, v3
	v_cmp_gt_u64_e32 vcc, s[14:15], v[16:17]
	s_and_saveexec_b64 s[0:1], vcc
	s_xor_b64 s[18:19], exec, s[0:1]
	s_cbranch_execz .LBB3_67
; %bb.60:                               ;   in Loop: Header=BB3_8 Depth=1
	v_cmp_ne_u32_e32 vcc, 0, v3
	v_pk_mov_b32 v[24:25], 0, 0
	s_and_saveexec_b64 s[20:21], vcc
	s_cbranch_execz .LBB3_66
; %bb.61:                               ;   in Loop: Header=BB3_8 Depth=1
	v_bfe_u32 v7, v3, 23, 8
	v_and_b32_e32 v4, 0x7fffff, v3
	v_sub_u32_e64 v8, s36, v7 clamp
	v_cmp_eq_u32_e32 vcc, 0, v7
	v_or_b32_e32 v16, 0x800000, v4
	v_add_u32_e32 v19, 0xffffff89, v7
	v_cndmask_b32_e32 v7, v8, v31, vcc
	v_cndmask_b32_e32 v16, v16, v4, vcc
	v_add_u32_e32 v4, 20, v7
	v_lshlrev_b64 v[24:25], v4, -1
	v_not_b32_e32 v4, v24
	v_and_b32_e32 v24, v16, v4
	v_add_u32_e32 v4, 19, v7
	v_mov_b32_e32 v25, v17
	v_lshlrev_b64 v[26:27], v4, 1
	v_cmp_eq_u64_e64 s[0:1], v[24:25], v[26:27]
	v_lshrrev_b64 v[24:25], v7, v[16:17]
	v_and_b32_e32 v16, 0x100000, v24
	v_cndmask_b32_e32 v4, v19, v32, vcc
	v_cmp_eq_u64_e32 vcc, 0, v[16:17]
	v_lshrrev_b32_e32 v8, 23, v24
	s_and_b64 vcc, vcc, s[0:1]
	v_add3_u32 v7, v4, v7, v8
	v_subbrev_co_u32_e32 v4, vcc, 0, v24, vcc
	v_and_b32_e32 v4, 0xfffff, v4
	v_add_co_u32_e32 v24, vcc, v4, v24
	v_add_u32_e32 v8, -1, v7
	v_addc_co_u32_e32 v25, vcc, 0, v25, vcc
	v_cmp_ne_u32_e32 vcc, 0, v8
                                        ; implicit-def: $vgpr4
	s_and_saveexec_b64 s[0:1], vcc
	s_xor_b64 s[0:1], exec, s[0:1]
; %bb.62:                               ;   in Loop: Header=BB3_8 Depth=1
	v_and_b32_e32 v16, 0x1000000, v24
	v_cmp_eq_u64_e32 vcc, 0, v[16:17]
	v_cndmask_b32_e32 v4, v7, v8, vcc
	v_bfe_u32 v7, v24, 24, 1
	v_lshrrev_b64 v[24:25], v7, v[24:25]
; %bb.63:                               ;   in Loop: Header=BB3_8 Depth=1
	s_andn2_saveexec_b64 s[0:1], s[0:1]
; %bb.64:                               ;   in Loop: Header=BB3_8 Depth=1
	v_bfe_u32 v4, v24, 23, 1
; %bb.65:                               ;   in Loop: Header=BB3_8 Depth=1
	s_or_b64 exec, exec, s[0:1]
	v_lshrrev_b64 v[24:25], 20, v[24:25]
	v_cmp_gt_i32_e32 vcc, 16, v4
	v_and_b32_sdwa v3, v3, s37 dst_sel:DWORD dst_unused:UNUSED_PAD src0_sel:BYTE_3 src1_sel:DWORD
	v_min_i32_e32 v7, 15, v4
	v_cndmask_b32_e32 v25, 0, v25, vcc
	v_cndmask_b32_e32 v24, 7, v24, vcc
	v_cmp_eq_u32_e32 vcc, 0, v4
	v_cmp_eq_u64_e64 s[0:1], 0, v[24:25]
	v_lshl_or_b32 v3, v7, 3, v3
	v_and_or_b32 v3, v24, 7, v3
	s_and_b64 s[0:1], vcc, s[0:1]
	v_cndmask_b32_e64 v24, v3, 0, s[0:1]
.LBB3_66:                               ;   in Loop: Header=BB3_8 Depth=1
	s_or_b64 exec, exec, s[20:21]
.LBB3_67:                               ;   in Loop: Header=BB3_8 Depth=1
	s_andn2_saveexec_b64 s[0:1], s[18:19]
	s_or_b64 exec, exec, s[0:1]
.LBB3_68:                               ;   in Loop: Header=BB3_8 Depth=1
	s_andn2_saveexec_b64 s[0:1], s[16:17]
	s_or_b64 exec, exec, s[0:1]
	v_cvt_f32_f16_e64 v3, -v9
	v_mul_f32_e32 v4, 0x3fb8aa3b, v3
	v_rndne_f32_e32 v7, v4
	v_fma_mix_f32 v8, -v9, s9, -v4 op_sel_hi:[1,0,0]
	v_sub_f32_e32 v4, v4, v7
	v_fma_mix_f32 v8, -v9, s31, v8 op_sel_hi:[1,0,0]
	v_add_f32_e32 v4, v4, v8
	v_cvt_i32_f32_e32 v7, v7
	v_exp_f32_e32 v4, v4
	v_cvt_f32_f16_e32 v8, v9
	v_cmp_ngt_f32_e32 vcc, s33, v3
	v_ldexp_f32 v4, v4, v7
	v_cndmask_b32_e32 v4, 0, v4, vcc
	v_cmp_nlt_f32_e32 vcc, s34, v3
	v_cndmask_b32_e32 v3, v30, v4, vcc
	v_add_f32_e32 v3, 1.0, v3
	v_div_scale_f32 v4, s[0:1], v3, v3, v8
	v_rcp_f32_e32 v7, v4
	v_div_scale_f32 v16, vcc, v8, v3, v8
	v_fma_f32 v19, -v4, v7, 1.0
	v_fmac_f32_e32 v7, v19, v7
	v_mul_f32_e32 v19, v16, v7
	v_fma_f32 v21, -v4, v19, v16
	v_fmac_f32_e32 v19, v21, v7
	v_fma_f32 v4, -v4, v19, v16
	v_div_fmas_f32 v4, v4, v7, v19
	v_div_fixup_f32 v3, v4, v3, v8
	v_cvt_f16_f32_e32 v3, v3
	v_mul_f16_e32 v3, v5, v3
	v_cvt_f32_f16_e32 v3, v3
	v_mul_f32_e32 v3, v10, v3
	v_min_f32_e32 v3, 0x43600000, v3
	v_max_f32_e32 v3, 0xc3600000, v3
	v_and_b32_e32 v16, 0x7f800000, v3
	v_or_b32_sdwa v26, v3, s35 dst_sel:DWORD dst_unused:UNUSED_PAD src0_sel:BYTE_3 src1_sel:DWORD
	v_cmp_ne_u64_e32 vcc, s[12:13], v[16:17]
	s_and_saveexec_b64 s[0:1], vcc
	s_xor_b64 s[16:17], exec, s[0:1]
	s_cbranch_execz .LBB3_78
; %bb.69:                               ;   in Loop: Header=BB3_8 Depth=1
	v_and_b32_e32 v16, 0x7fffffff, v3
	v_cmp_gt_u64_e32 vcc, s[14:15], v[16:17]
	s_and_saveexec_b64 s[0:1], vcc
	s_xor_b64 s[18:19], exec, s[0:1]
	s_cbranch_execz .LBB3_77
; %bb.70:                               ;   in Loop: Header=BB3_8 Depth=1
	v_cmp_ne_u32_e32 vcc, 0, v3
	v_pk_mov_b32 v[26:27], 0, 0
	s_and_saveexec_b64 s[20:21], vcc
	s_cbranch_execz .LBB3_76
; %bb.71:                               ;   in Loop: Header=BB3_8 Depth=1
	v_bfe_u32 v7, v3, 23, 8
	v_and_b32_e32 v4, 0x7fffff, v3
	v_sub_u32_e64 v8, s36, v7 clamp
	v_cmp_eq_u32_e32 vcc, 0, v7
	v_or_b32_e32 v16, 0x800000, v4
	v_add_u32_e32 v19, 0xffffff89, v7
	v_cndmask_b32_e32 v7, v8, v31, vcc
	v_cndmask_b32_e32 v16, v16, v4, vcc
	v_add_u32_e32 v4, 20, v7
	v_lshlrev_b64 v[26:27], v4, -1
	v_not_b32_e32 v4, v26
	v_and_b32_e32 v26, v16, v4
	v_add_u32_e32 v4, 19, v7
	v_mov_b32_e32 v27, v17
	v_lshlrev_b64 v[34:35], v4, 1
	v_cmp_eq_u64_e64 s[0:1], v[26:27], v[34:35]
	v_lshrrev_b64 v[26:27], v7, v[16:17]
	v_and_b32_e32 v16, 0x100000, v26
	v_cndmask_b32_e32 v4, v19, v32, vcc
	v_cmp_eq_u64_e32 vcc, 0, v[16:17]
	v_lshrrev_b32_e32 v8, 23, v26
	s_and_b64 vcc, vcc, s[0:1]
	v_add3_u32 v7, v4, v7, v8
	v_subbrev_co_u32_e32 v4, vcc, 0, v26, vcc
	v_and_b32_e32 v4, 0xfffff, v4
	v_add_co_u32_e32 v26, vcc, v4, v26
	v_add_u32_e32 v8, -1, v7
	v_addc_co_u32_e32 v27, vcc, 0, v27, vcc
	v_cmp_ne_u32_e32 vcc, 0, v8
                                        ; implicit-def: $vgpr4
	s_and_saveexec_b64 s[0:1], vcc
	s_xor_b64 s[0:1], exec, s[0:1]
; %bb.72:                               ;   in Loop: Header=BB3_8 Depth=1
	v_and_b32_e32 v16, 0x1000000, v26
	v_cmp_eq_u64_e32 vcc, 0, v[16:17]
	v_cndmask_b32_e32 v4, v7, v8, vcc
	v_bfe_u32 v7, v26, 24, 1
	v_lshrrev_b64 v[26:27], v7, v[26:27]
; %bb.73:                               ;   in Loop: Header=BB3_8 Depth=1
	s_andn2_saveexec_b64 s[0:1], s[0:1]
; %bb.74:                               ;   in Loop: Header=BB3_8 Depth=1
	v_bfe_u32 v4, v26, 23, 1
; %bb.75:                               ;   in Loop: Header=BB3_8 Depth=1
	s_or_b64 exec, exec, s[0:1]
	v_lshrrev_b64 v[26:27], 20, v[26:27]
	v_cmp_gt_i32_e32 vcc, 16, v4
	v_and_b32_sdwa v3, v3, s37 dst_sel:DWORD dst_unused:UNUSED_PAD src0_sel:BYTE_3 src1_sel:DWORD
	v_min_i32_e32 v7, 15, v4
	v_cndmask_b32_e32 v27, 0, v27, vcc
	v_cndmask_b32_e32 v26, 7, v26, vcc
	v_cmp_eq_u32_e32 vcc, 0, v4
	v_cmp_eq_u64_e64 s[0:1], 0, v[26:27]
	v_lshl_or_b32 v3, v7, 3, v3
	v_and_or_b32 v3, v26, 7, v3
	s_and_b64 s[0:1], vcc, s[0:1]
	v_cndmask_b32_e64 v26, v3, 0, s[0:1]
.LBB3_76:                               ;   in Loop: Header=BB3_8 Depth=1
	s_or_b64 exec, exec, s[20:21]
.LBB3_77:                               ;   in Loop: Header=BB3_8 Depth=1
	s_andn2_saveexec_b64 s[0:1], s[18:19]
	s_or_b64 exec, exec, s[0:1]
.LBB3_78:                               ;   in Loop: Header=BB3_8 Depth=1
	s_andn2_saveexec_b64 s[0:1], s[16:17]
	s_or_b64 exec, exec, s[0:1]
	v_cvt_f32_f16_sdwa v3, -v9 dst_sel:DWORD dst_unused:UNUSED_PAD src0_sel:WORD_1
	v_mul_f32_e32 v4, 0x3fb8aa3b, v3
	v_rndne_f32_e32 v7, v4
	v_fma_mix_f32 v8, -v9, s9, -v4 op_sel:[1,0,0] op_sel_hi:[1,0,0]
	v_sub_f32_e32 v4, v4, v7
	v_fma_mix_f32 v8, -v9, s31, v8 op_sel:[1,0,0] op_sel_hi:[1,0,0]
	v_add_f32_e32 v4, v4, v8
	v_cvt_i32_f32_e32 v7, v7
	v_exp_f32_e32 v4, v4
	v_cvt_f32_f16_sdwa v8, v9 dst_sel:DWORD dst_unused:UNUSED_PAD src0_sel:WORD_1
	v_cmp_ngt_f32_e32 vcc, s33, v3
	v_ldexp_f32 v4, v4, v7
	v_cndmask_b32_e32 v4, 0, v4, vcc
	v_cmp_nlt_f32_e32 vcc, s34, v3
	v_cndmask_b32_e32 v3, v30, v4, vcc
	v_add_f32_e32 v3, 1.0, v3
	v_div_scale_f32 v4, s[0:1], v3, v3, v8
	v_rcp_f32_e32 v7, v4
	v_div_scale_f32 v9, vcc, v8, v3, v8
	v_fma_f32 v16, -v4, v7, 1.0
	v_fmac_f32_e32 v7, v16, v7
	v_mul_f32_e32 v16, v9, v7
	v_fma_f32 v19, -v4, v16, v9
	v_fmac_f32_e32 v16, v19, v7
	v_fma_f32 v4, -v4, v16, v9
	v_div_fmas_f32 v4, v4, v7, v16
	v_div_fixup_f32 v3, v4, v3, v8
	v_cvt_f16_f32_e32 v3, v3
	v_mul_f16_sdwa v3, v5, v3 dst_sel:DWORD dst_unused:UNUSED_PAD src0_sel:WORD_1 src1_sel:DWORD
	v_cvt_f32_f16_e32 v3, v3
	v_mul_f32_e32 v3, v10, v3
	v_min_f32_e32 v3, 0x43600000, v3
	v_max_f32_e32 v3, 0xc3600000, v3
	v_and_b32_e32 v16, 0x7f800000, v3
	v_or_b32_sdwa v4, v3, s35 dst_sel:DWORD dst_unused:UNUSED_PAD src0_sel:BYTE_3 src1_sel:DWORD
	v_cmp_ne_u64_e32 vcc, s[12:13], v[16:17]
	s_and_saveexec_b64 s[0:1], vcc
	s_xor_b64 s[16:17], exec, s[0:1]
	s_cbranch_execz .LBB3_7
; %bb.79:                               ;   in Loop: Header=BB3_8 Depth=1
	v_and_b32_e32 v16, 0x7fffffff, v3
	v_cmp_gt_u64_e32 vcc, s[14:15], v[16:17]
	s_and_saveexec_b64 s[0:1], vcc
	s_xor_b64 s[18:19], exec, s[0:1]
	s_cbranch_execz .LBB3_6
; %bb.80:                               ;   in Loop: Header=BB3_8 Depth=1
	v_cmp_ne_u32_e32 vcc, 0, v3
	v_pk_mov_b32 v[4:5], 0, 0
	s_and_saveexec_b64 s[20:21], vcc
	s_cbranch_execz .LBB3_5
; %bb.81:                               ;   in Loop: Header=BB3_8 Depth=1
	v_bfe_u32 v5, v3, 23, 8
	v_and_b32_e32 v4, 0x7fffff, v3
	v_sub_u32_e64 v7, s36, v5 clamp
	v_cmp_eq_u32_e32 vcc, 0, v5
	v_or_b32_e32 v8, 0x800000, v4
	v_cndmask_b32_e32 v7, v7, v31, vcc
	v_cndmask_b32_e32 v16, v8, v4, vcc
	v_add_u32_e32 v4, 20, v7
	v_add_u32_e32 v19, 0xffffff89, v5
	v_lshlrev_b64 v[4:5], v4, -1
	v_not_b32_e32 v4, v4
	v_add_u32_e32 v8, 19, v7
	v_and_b32_e32 v4, v16, v4
	v_mov_b32_e32 v5, v17
	v_lshlrev_b64 v[8:9], v8, 1
	v_cmp_eq_u64_e64 s[0:1], v[4:5], v[8:9]
	v_lshrrev_b64 v[4:5], v7, v[16:17]
	v_and_b32_e32 v16, 0x100000, v4
	v_cndmask_b32_e32 v8, v19, v32, vcc
	v_cmp_eq_u64_e32 vcc, 0, v[16:17]
	v_lshrrev_b32_e32 v9, 23, v4
	s_and_b64 vcc, vcc, s[0:1]
	v_add3_u32 v8, v8, v7, v9
	v_subbrev_co_u32_e32 v7, vcc, 0, v4, vcc
	v_and_b32_e32 v7, 0xfffff, v7
	v_add_co_u32_e32 v4, vcc, v7, v4
	v_add_u32_e32 v9, -1, v8
	v_addc_co_u32_e32 v5, vcc, 0, v5, vcc
	v_cmp_ne_u32_e32 vcc, 0, v9
                                        ; implicit-def: $vgpr7
	s_and_saveexec_b64 s[0:1], vcc
	s_xor_b64 s[0:1], exec, s[0:1]
; %bb.82:                               ;   in Loop: Header=BB3_8 Depth=1
	v_and_b32_e32 v16, 0x1000000, v4
	v_cmp_eq_u64_e32 vcc, 0, v[16:17]
	v_cndmask_b32_e32 v7, v8, v9, vcc
	v_bfe_u32 v8, v4, 24, 1
	v_lshrrev_b64 v[4:5], v8, v[4:5]
; %bb.83:                               ;   in Loop: Header=BB3_8 Depth=1
	s_andn2_saveexec_b64 s[0:1], s[0:1]
	s_cbranch_execz .LBB3_4
; %bb.84:                               ;   in Loop: Header=BB3_8 Depth=1
	v_bfe_u32 v7, v4, 23, 1
	s_branch .LBB3_4
.LBB3_85:
	s_or_b64 exec, exec, s[4:5]
	s_sub_i32 s0, 8, s24
	s_cmp_gt_i32 s38, s0
	s_cbranch_scc0 .LBB3_110
; %bb.86:
	v_add_u32_e32 v0, s0, v0
	v_cmp_gt_i32_e32 vcc, s38, v0
	s_and_saveexec_b64 s[0:1], vcc
	s_cbranch_execz .LBB3_110
; %bb.87:
	s_load_dword s2, s[2:3], 0xc
	s_ashr_i32 s39, s38, 31
	v_mov_b32_e32 v2, s39
	v_mov_b32_e32 v1, 0
	s_mov_b32 s33, 0
	s_waitcnt lgkmcnt(0)
	s_and_b32 s60, s2, 0xffff
	v_add_co_u32_e32 v4, vcc, s60, v0
	v_addc_co_u32_e64 v5, s[0:1], 0, 0, vcc
	v_cmp_gt_i64_e32 vcc, s[38:39], v[4:5]
	v_cndmask_b32_e32 v6, v5, v2, vcc
	v_mov_b32_e32 v2, s38
	v_cndmask_b32_e32 v3, v4, v2, vcc
	v_cndmask_b32_e64 v2, 0, 1, vcc
	v_add_co_u32_e32 v4, vcc, v4, v2
	v_addc_co_u32_e32 v5, vcc, 0, v5, vcc
	v_sub_co_u32_e32 v3, vcc, v3, v4
	v_cmp_gt_u16_e64 s[0:1], s2, 1
	v_subb_co_u32_e32 v5, vcc, v6, v5, vcc
	s_and_b64 s[0:1], s[0:1], exec
	v_mov_b32_e32 v4, v1
	s_cselect_b32 s0, 0, 0
	s_cselect_b32 s4, s60, 1
	v_cmp_ne_u64_e32 vcc, 0, v[4:5]
                                        ; implicit-def: $vgpr6_vgpr7
	s_and_saveexec_b64 s[2:3], vcc
	s_xor_b64 s[2:3], exec, s[2:3]
	s_cbranch_execz .LBB3_89
; %bb.88:
	v_cvt_f32_u32_e32 v4, s4
	v_mov_b32_e32 v6, 0x4f800000
	s_sub_u32 s1, 0, s4
	s_subb_u32 s0, 0, s0
	v_mac_f32_e32 v4, 0, v6
	v_rcp_f32_e32 v4, v4
	v_mul_f32_e32 v4, 0x5f7ffffc, v4
	v_mul_f32_e32 v6, 0x2f800000, v4
	v_trunc_f32_e32 v6, v6
	v_madmk_f32 v4, v6, 0xcf800000, v4
	v_cvt_u32_f32_e32 v6, v6
	v_cvt_u32_f32_e32 v4, v4
	v_mul_lo_u32 v7, s1, v6
	v_mul_hi_u32 v9, s1, v4
	v_mul_lo_u32 v8, s0, v4
	v_add_u32_e32 v7, v9, v7
	v_mul_lo_u32 v11, s1, v4
	v_add_u32_e32 v7, v7, v8
	v_mul_hi_u32 v9, v4, v11
	v_mul_lo_u32 v12, v4, v7
	v_mul_hi_u32 v8, v4, v7
	v_add_co_u32_e32 v9, vcc, v9, v12
	v_addc_co_u32_e32 v8, vcc, 0, v8, vcc
	v_mul_hi_u32 v13, v6, v11
	v_mul_lo_u32 v11, v6, v11
	v_add_co_u32_e32 v9, vcc, v9, v11
	v_mul_hi_u32 v12, v6, v7
	v_addc_co_u32_e32 v8, vcc, v8, v13, vcc
	v_addc_co_u32_e32 v9, vcc, 0, v12, vcc
	v_mul_lo_u32 v7, v6, v7
	v_add_co_u32_e32 v7, vcc, v8, v7
	v_addc_co_u32_e32 v8, vcc, 0, v9, vcc
	v_add_co_u32_e32 v4, vcc, v4, v7
	v_addc_co_u32_e32 v6, vcc, v6, v8, vcc
	v_mul_lo_u32 v7, s1, v6
	v_mul_hi_u32 v8, s1, v4
	v_add_u32_e32 v7, v8, v7
	v_mul_lo_u32 v8, s0, v4
	v_add_u32_e32 v7, v7, v8
	v_mul_lo_u32 v9, s1, v4
	v_mul_hi_u32 v11, v6, v9
	v_mul_lo_u32 v12, v6, v9
	v_mul_lo_u32 v14, v4, v7
	v_mul_hi_u32 v9, v4, v9
	v_mul_hi_u32 v13, v4, v7
	v_add_co_u32_e32 v9, vcc, v9, v14
	v_addc_co_u32_e32 v13, vcc, 0, v13, vcc
	v_add_co_u32_e32 v9, vcc, v9, v12
	v_mul_hi_u32 v8, v6, v7
	v_addc_co_u32_e32 v9, vcc, v13, v11, vcc
	v_addc_co_u32_e32 v8, vcc, 0, v8, vcc
	v_mul_lo_u32 v7, v6, v7
	v_add_co_u32_e32 v7, vcc, v9, v7
	v_addc_co_u32_e32 v8, vcc, 0, v8, vcc
	v_add_co_u32_e32 v4, vcc, v4, v7
	v_addc_co_u32_e32 v8, vcc, v6, v8, vcc
	v_mad_u64_u32 v[6:7], s[0:1], v3, v8, 0
	v_mul_hi_u32 v9, v3, v4
	v_add_co_u32_e32 v11, vcc, v9, v6
	v_addc_co_u32_e32 v12, vcc, 0, v7, vcc
	v_mad_u64_u32 v[6:7], s[0:1], v5, v8, 0
	v_mad_u64_u32 v[8:9], s[0:1], v5, v4, 0
	v_add_co_u32_e32 v4, vcc, v11, v8
	v_addc_co_u32_e32 v4, vcc, v12, v9, vcc
	v_addc_co_u32_e32 v7, vcc, 0, v7, vcc
	v_add_co_u32_e32 v11, vcc, v4, v6
	v_addc_co_u32_e32 v12, vcc, 0, v7, vcc
	v_mad_u64_u32 v[6:7], s[0:1], s4, v11, 0
	v_mov_b32_e32 v4, v7
	v_mad_u64_u32 v[8:9], s[0:1], s4, v12, v[4:5]
	v_sub_co_u32_e32 v3, vcc, v3, v6
	v_subb_co_u32_e32 v4, vcc, v5, v8, vcc
	v_subrev_co_u32_e32 v5, vcc, s4, v3
	v_subbrev_co_u32_e32 v6, vcc, 0, v4, vcc
	v_cmp_le_u32_e32 vcc, s4, v5
	v_cndmask_b32_e64 v5, 0, -1, vcc
	v_cmp_eq_u32_e32 vcc, 0, v6
	v_cndmask_b32_e32 v5, -1, v5, vcc
	v_add_co_u32_e32 v6, vcc, 2, v11
	v_addc_co_u32_e32 v7, vcc, 0, v12, vcc
	v_add_co_u32_e32 v8, vcc, 1, v11
	v_cmp_le_u32_e64 s[0:1], s4, v3
	v_addc_co_u32_e32 v9, vcc, 0, v12, vcc
	v_cndmask_b32_e64 v3, 0, -1, s[0:1]
	v_cmp_eq_u32_e64 s[0:1], 0, v4
	v_cmp_ne_u32_e32 vcc, 0, v5
	v_cndmask_b32_e64 v3, -1, v3, s[0:1]
	v_cndmask_b32_e32 v5, v9, v7, vcc
	v_cmp_ne_u32_e64 s[0:1], 0, v3
	v_cndmask_b32_e32 v3, v8, v6, vcc
	v_cndmask_b32_e64 v7, v12, v5, s[0:1]
	v_cndmask_b32_e64 v6, v11, v3, s[0:1]
                                        ; implicit-def: $vgpr3
.LBB3_89:
	s_andn2_saveexec_b64 s[0:1], s[2:3]
	s_cbranch_execz .LBB3_91
; %bb.90:
	v_cvt_f32_u32_e32 v4, s4
	s_sub_i32 s2, 0, s4
	v_mov_b32_e32 v7, 0
	v_rcp_iflag_f32_e32 v4, v4
	v_mul_f32_e32 v4, 0x4f7ffffe, v4
	v_cvt_u32_f32_e32 v4, v4
	v_mul_lo_u32 v5, s2, v4
	v_mul_hi_u32 v5, v4, v5
	v_add_u32_e32 v4, v4, v5
	v_mul_hi_u32 v4, v3, v4
	v_mul_lo_u32 v5, v4, s4
	v_sub_u32_e32 v3, v3, v5
	v_add_u32_e32 v6, 1, v4
	v_subrev_u32_e32 v5, s4, v3
	v_cmp_le_u32_e32 vcc, s4, v3
	v_cndmask_b32_e32 v3, v3, v5, vcc
	v_cndmask_b32_e32 v4, v4, v6, vcc
	v_add_u32_e32 v5, 1, v4
	v_cmp_le_u32_e32 vcc, s4, v3
	v_cndmask_b32_e32 v6, v4, v5, vcc
.LBB3_91:
	s_or_b64 exec, exec, s[0:1]
	v_add_co_u32_e32 v2, vcc, v6, v2
	v_addc_co_u32_e32 v3, vcc, 0, v7, vcc
	v_add_co_u32_e32 v2, vcc, 1, v2
	v_addc_co_u32_e32 v3, vcc, 0, v3, vcc
	v_cmp_gt_u64_e32 vcc, 4, v[2:3]
	v_cmp_ne_u16_e64 s[0:1], s60, 1
                                        ; kill: def $vgpr4_vgpr5 killed $sgpr0_sgpr1 killed $exec
	s_or_b64 s[4:5], vcc, s[0:1]
	s_mov_b64 s[46:47], 0
	v_mov_b32_e32 v5, v3
                                        ; implicit-def: $sgpr2_sgpr3
                                        ; implicit-def: $sgpr0_sgpr1
	s_and_saveexec_b64 s[8:9], s[4:5]
	s_xor_b64 s[4:5], exec, s[8:9]
; %bb.92:
	s_lshl_b64 s[0:1], s[6:7], 2
	s_or_b32 s0, s0, 2
	s_mul_i32 s2, s0, s23
	s_mul_hi_u32 s3, s0, s22
	s_add_i32 s2, s3, s2
	s_mul_i32 s1, s1, s22
	s_mov_b64 s[46:47], exec
	s_add_i32 s3, s2, s1
	s_mul_i32 s2, s0, s22
	s_lshl_b64 s[0:1], s[44:45], 2
                                        ; implicit-def: $vgpr2_vgpr3
                                        ; implicit-def: $vgpr5
; %bb.93:
	s_or_saveexec_b64 s[48:49], s[4:5]
	v_pk_mov_b32 v[6:7], s[2:3], s[2:3] op_sel:[0,1]
	v_pk_mov_b32 v[8:9], s[0:1], s[0:1] op_sel:[0,1]
	s_xor_b64 exec, exec, s[48:49]
	s_cbranch_execz .LBB3_97
; %bb.94:
	s_lshl_b64 s[0:1], s[6:7], 2
	s_or_b32 s0, s0, 2
	s_mul_i32 s3, s0, s23
	s_mul_hi_u32 s4, s0, s22
	s_add_i32 s3, s4, s3
	s_mul_i32 s1, s1, s22
	s_lshl_b64 s[50:51], s[44:45], 2
	v_lshlrev_b32_e32 v6, 1, v0
	s_lshl_b32 s61, s60, 3
	s_add_i32 s53, s3, s1
	v_mov_b32_e32 v7, s43
	v_add_co_u32_e32 v6, vcc, s42, v6
	s_mul_i32 s52, s0, s22
	s_add_u32 s0, s40, s44
	v_addc_co_u32_e32 v7, vcc, 0, v7, vcc
	s_addc_u32 s1, s41, s45
	v_and_b32_e32 v4, -4, v2
	s_mov_b32 s2, 0
	v_mov_b32_e32 v9, s1
	v_add_co_u32_e32 v8, vcc, s0, v0
	v_mov_b32_e32 v11, v10
	v_addc_co_u32_e32 v9, vcc, 0, v9, vcc
	s_lshl_b32 s62, s60, 2
	s_mov_b64 s[54:55], 0
	v_mov_b32_e32 v50, s51
	v_mov_b32_e32 v51, s53
	s_mov_b32 s63, 0x3fb8aa3b
	s_mov_b32 s64, 0x32a5705f
	;; [unrolled: 1-line block ×4, first 2 shown]
	v_mov_b32_e32 v52, 0x7f800000
	v_mov_b32_e32 v12, v10
	;; [unrolled: 1-line block ×3, first 2 shown]
	s_movk_i32 s67, 0x80
	s_mov_b64 s[56:57], 0x7f800000
	s_mov_b64 s[58:59], 0x43700001
	s_movk_i32 s68, 0x78
	v_mov_b32_e32 v53, 0x77
	v_mov_b32_e32 v54, 0xffffff8a
	s_movk_i32 s69, 0x7f
	v_mov_b32_e32 v55, s2
	v_mov_b32_e32 v56, s2
	;; [unrolled: 1-line block ×3, first 2 shown]
	v_pk_mov_b32 v[16:17], v[4:5], v[4:5] op_sel:[0,1]
.LBB3_95:                               ; =>This Inner Loop Header: Depth=1
	v_add_co_u32_e32 v36, vcc, s50, v6
	v_addc_co_u32_e32 v37, vcc, v7, v50, vcc
	v_add_co_u32_e32 v38, vcc, s52, v6
	v_addc_co_u32_e32 v39, vcc, v7, v51, vcc
	global_load_dwordx2 v[44:45], v[36:37], off
	global_load_dwordx2 v[40:41], v[38:39], off
	v_mov_b32_e32 v43, v15
	v_mov_b32_e32 v33, v15
	;; [unrolled: 1-line block ×10, first 2 shown]
	s_waitcnt vmcnt(1)
	v_cvt_f32_f16_e64 v24, -v44
	v_cvt_f32_f16_sdwa v26, -v44 dst_sel:DWORD dst_unused:UNUSED_PAD src0_sel:WORD_1
	v_cvt_f32_f16_e64 v20, -v45
	v_cvt_f32_f16_sdwa v22, -v45 dst_sel:DWORD dst_unused:UNUSED_PAD src0_sel:WORD_1
	v_mul_f32_e32 v34, 0x3fb8aa3b, v24
	v_mul_f32_e32 v36, 0x3fb8aa3b, v26
	;; [unrolled: 1-line block ×3, first 2 shown]
	v_fma_mix_f32 v39, -v44, s63, -v34 op_sel_hi:[1,0,0]
	v_fma_mix_f32 v42, -v44, s63, -v36 op_sel:[1,0,0] op_sel_hi:[1,0,0]
	v_cvt_f32_f16_sdwa v14, v44 dst_sel:DWORD dst_unused:UNUSED_PAD src0_sel:WORD_1
	v_cvt_f32_f16_e32 v30, v44
	v_fma_mix_f32 v37, -v45, s63, -v28 op_sel_hi:[1,0,0]
	v_fma_mix_f32 v39, -v44, s64, v39 op_sel_hi:[1,0,0]
	v_fma_mix_f32 v42, -v44, s64, v42 op_sel:[1,0,0] op_sel_hi:[1,0,0]
	v_rndne_f32_e32 v44, v28
	v_mul_f32_e32 v32, 0x3fb8aa3b, v22
	v_fma_mix_f32 v37, -v45, s64, v37 op_sel_hi:[1,0,0]
	v_sub_f32_e32 v28, v28, v44
	v_fma_mix_f32 v38, -v45, s63, -v32 op_sel:[1,0,0] op_sel_hi:[1,0,0]
	v_add_f32_e32 v28, v28, v37
	v_rndne_f32_e32 v37, v32
	v_fma_mix_f32 v38, -v45, s64, v38 op_sel:[1,0,0] op_sel_hi:[1,0,0]
	v_sub_f32_e32 v32, v32, v37
	v_cvt_f32_f16_sdwa v18, v45 dst_sel:DWORD dst_unused:UNUSED_PAD src0_sel:WORD_1
	v_cvt_f32_f16_e32 v46, v45
	v_add_f32_e32 v32, v32, v38
	v_rndne_f32_e32 v38, v34
	v_rndne_f32_e32 v45, v36
	v_sub_f32_e32 v34, v34, v38
	v_sub_f32_e32 v36, v36, v45
	v_add_f32_e32 v34, v34, v39
	v_cvt_i32_f32_e32 v39, v44
	v_add_f32_e32 v36, v36, v42
	v_exp_f32_e32 v28, v28
	v_cvt_i32_f32_e32 v37, v37
	v_exp_f32_e32 v32, v32
	v_cvt_i32_f32_e32 v38, v38
	v_cvt_i32_f32_e32 v42, v45
	v_exp_f32_e32 v34, v34
	v_exp_f32_e32 v36, v36
	v_ldexp_f32 v28, v28, v39
	v_ldexp_f32 v32, v32, v37
	v_cmp_ngt_f32_e32 vcc, s65, v22
	v_cmp_ngt_f32_e64 s[4:5], s65, v20
	v_ldexp_f32 v34, v34, v38
	v_cmp_ngt_f32_e64 s[0:1], s65, v24
	v_ldexp_f32 v36, v36, v42
	v_cmp_ngt_f32_e64 s[2:3], s65, v26
	v_cndmask_b32_e64 v28, 0, v28, s[4:5]
	v_cndmask_b32_e32 v32, 0, v32, vcc
	v_cmp_nlt_f32_e32 vcc, s66, v22
	v_cmp_nlt_f32_e64 s[4:5], s66, v20
	v_cndmask_b32_e64 v22, 0, v34, s[0:1]
	v_cmp_nlt_f32_e64 s[0:1], s66, v24
	v_cndmask_b32_e64 v24, 0, v36, s[2:3]
	v_cndmask_b32_e64 v36, v52, v28, s[4:5]
	v_cndmask_b32_e32 v37, v52, v32, vcc
	v_pk_add_f32 v[36:37], v[36:37], 1.0 op_sel_hi:[1,0]
	v_cndmask_b32_e64 v44, v52, v22, s[0:1]
	v_div_scale_f32 v20, s[0:1], v36, v36, v46
	v_cmp_nlt_f32_e64 s[2:3], s66, v26
	v_rcp_f32_e32 v26, v20
	v_cndmask_b32_e64 v45, v52, v24, s[2:3]
	v_div_scale_f32 v24, s[0:1], v37, v37, v18
	v_rcp_f32_e32 v28, v24
	v_fma_f32 v32, -v20, v26, 1.0
	v_div_scale_f32 v22, vcc, v46, v36, v46
	v_fmac_f32_e32 v26, v32, v26
	v_fma_f32 v34, -v24, v28, 1.0
	v_mul_f32_e32 v32, v22, v26
	v_fmac_f32_e32 v28, v34, v28
	v_fma_f32 v34, -v20, v32, v22
	v_fmac_f32_e32 v32, v34, v26
	v_div_scale_f32 v34, s[0:1], v18, v37, v18
	v_fma_f32 v20, -v20, v32, v22
	v_mul_f32_e32 v22, v34, v28
	v_div_fmas_f32 v20, v20, v26, v32
	v_fma_f32 v26, -v24, v22, v34
	v_fmac_f32_e32 v22, v26, v28
	v_fma_f32 v24, -v24, v22, v34
	s_mov_b64 vcc, s[0:1]
	v_div_fmas_f32 v22, v24, v28, v22
	v_div_fixup_f32 v20, v20, v36, v46
	v_div_fixup_f32 v18, v22, v37, v18
	v_cvt_f16_f32_e32 v20, v20
	v_cvt_f16_f32_e32 v18, v18
	v_pk_add_f32 v[44:45], v[44:45], 1.0 op_sel_hi:[1,0]
	v_mov_b32_e32 v39, v15
	v_div_scale_f32 v48, s[2:3], v44, v44, v30
	v_pack_b32_f16 v18, v20, v18
	s_waitcnt vmcnt(0)
	v_pk_mul_f16 v18, v41, v18
	v_cvt_f32_f16_e32 v36, v18
	v_cvt_f32_f16_sdwa v37, v18 dst_sel:DWORD dst_unused:UNUSED_PAD src0_sel:WORD_1
	v_div_scale_f32 v34, s[2:3], v45, v45, v14
	v_rcp_f32_e32 v57, v48
	v_pk_mul_f32 v[36:37], v[12:13], v[36:37]
	v_min_f32_e32 v18, 0x43600000, v37
	v_max_f32_e32 v22, 0xc3600000, v18
	v_bfe_u32 v18, v22, 23, 8
	v_and_b32_e32 v24, 0x7fffff, v22
	v_sub_u32_e64 v26, s68, v18 clamp
	v_cmp_eq_u32_e64 s[4:5], 0, v18
	v_min_f32_e32 v20, 0x43600000, v36
	v_or_b32_e32 v28, 0x800000, v24
	v_cndmask_b32_e64 v36, v26, v53, s[4:5]
	v_cndmask_b32_e64 v26, v28, v24, s[4:5]
	v_add_u32_e32 v24, 20, v36
	v_lshlrev_b64 v[46:47], v24, -1
	v_max_f32_e32 v20, 0xc3600000, v20
	v_not_b32_e32 v24, v46
	v_add_u32_e32 v28, 19, v36
	v_and_b32_e32 v38, v26, v24
	v_bfe_u32 v24, v20, 23, 8
	v_lshlrev_b64 v[46:47], v28, 1
	v_sub_u32_e64 v37, s68, v24 clamp
	v_cmp_eq_u32_e64 s[6:7], 0, v24
	v_cmp_eq_u64_e64 s[0:1], v[38:39], v[46:47]
	v_cndmask_b32_e64 v38, v37, v53, s[6:7]
	v_and_b32_e32 v28, 0x7fffff, v20
	v_add_u32_e32 v37, 20, v38
	v_rcp_f32_e32 v41, v34
	v_or_b32_e32 v39, 0x800000, v28
	v_lshlrev_b64 v[46:47], v37, -1
	v_cndmask_b32_e64 v28, v39, v28, s[6:7]
	v_not_b32_e32 v37, v46
	v_add_u32_e32 v39, 19, v38
	v_and_b32_e32 v42, v28, v37
	v_fma_f32 v37, -v48, v57, 1.0
	v_div_scale_f32 v32, s[10:11], v30, v44, v30
	v_lshlrev_b64 v[46:47], v39, 1
	v_fma_f32 v39, -v34, v41, 1.0
	v_fmac_f32_e32 v57, v37, v57
	v_div_scale_f32 v49, s[8:9], v14, v45, v14
	v_fmac_f32_e32 v41, v39, v41
	v_mul_f32_e32 v39, v32, v57
	v_cmp_eq_u64_e64 s[2:3], v[42:43], v[46:47]
	v_mul_f32_e32 v42, v49, v41
	v_fma_f32 v37, -v48, v39, v32
	v_fmac_f32_e32 v39, v37, v57
	v_fma_f32 v37, -v34, v42, v49
	v_fmac_f32_e32 v42, v37, v41
	v_fma_f32 v32, -v48, v39, v32
	s_mov_b64 vcc, s[10:11]
	v_div_fmas_f32 v32, v32, v57, v39
	v_fma_f32 v34, -v34, v42, v49
	s_mov_b64 vcc, s[8:9]
	v_div_fixup_f32 v30, v32, v44, v30
	v_div_fmas_f32 v32, v34, v41, v42
	v_div_fixup_f32 v14, v32, v45, v14
	v_cvt_f16_f32_e32 v30, v30
	v_cvt_f16_f32_e32 v14, v14
	v_and_b32_e32 v32, 0x7fffffff, v22
	v_cmp_gt_u64_e64 s[10:11], s[58:59], v[32:33]
	v_and_b32_e32 v34, 0x7f800000, v22
	v_pack_b32_f16 v14, v30, v14
	v_pk_mul_f16 v14, v40, v14
	v_cvt_f32_f16_e32 v32, v14
	v_cvt_f32_f16_sdwa v33, v14 dst_sel:DWORD dst_unused:UNUSED_PAD src0_sel:WORD_1
	v_cmp_ne_u64_e64 s[8:9], s[56:57], v[34:35]
	v_and_b32_e32 v30, 0x7fffffff, v20
	v_and_b32_e32 v14, 0x7f800000, v20
	v_pk_mul_f32 v[32:33], v[10:11], v[32:33]
	v_min_f32_e32 v32, 0x43600000, v32
	v_min_f32_e32 v33, 0x43600000, v33
	v_max_f32_e32 v32, 0xc3600000, v32
	v_max_f32_e32 v33, 0xc3600000, v33
	v_add_u32_e32 v34, 0xffffff89, v18
	v_and_b32_e32 v18, 0x7f800000, v32
	v_and_b32_sdwa v57, v20, s67 dst_sel:DWORD dst_unused:UNUSED_PAD src0_sel:BYTE_3 src1_sel:DWORD
	v_cmp_gt_u64_e64 s[12:13], s[58:59], v[30:31]
	v_and_b32_sdwa v58, v22, s67 dst_sel:DWORD dst_unused:UNUSED_PAD src0_sel:BYTE_3 src1_sel:DWORD
	v_cmp_eq_u32_e64 s[14:15], 0, v20
	v_cmp_eq_u32_e64 s[16:17], 0, v22
	v_cmp_ne_u32_e64 s[18:19], 0, v20
	v_cmp_ne_u32_e64 s[20:21], 0, v22
	v_or_b32_sdwa v30, v22, s69 dst_sel:DWORD dst_unused:UNUSED_PAD src0_sel:BYTE_3 src1_sel:DWORD
	v_or_b32_sdwa v31, v20, s69 dst_sel:DWORD dst_unused:UNUSED_PAD src0_sel:BYTE_3 src1_sel:DWORD
	v_cmp_ne_u64_e64 s[22:23], s[56:57], v[14:15]
	v_add_u32_e32 v40, 0xffffff89, v24
	v_and_b32_e32 v20, 0x7fffff, v33
	v_and_b32_e32 v22, 0x7f800000, v33
	v_cmp_ne_u64_e64 s[26:27], s[56:57], v[18:19]
	v_bfe_u32 v18, v33, 23, 8
	v_and_b32_e32 v24, 0x7fffffff, v32
	v_and_b32_e32 v14, 0x7fffffff, v33
	s_and_b64 s[72:73], s[8:9], s[10:11]
	v_cmp_ne_u64_e64 s[24:25], s[56:57], v[22:23]
	v_and_b32_e32 v22, 0x7fffff, v32
	v_bfe_u32 v23, v32, 23, 8
	v_cmp_gt_u64_e64 s[28:29], s[58:59], v[14:15]
	v_cmp_gt_u64_e64 s[30:31], s[58:59], v[24:25]
	v_sub_u32_e64 v14, s68, v18 clamp
	v_or_b32_e32 v19, 0x800000, v20
	v_cmp_eq_u32_e64 s[34:35], 0, v18
	s_and_b64 s[70:71], s[22:23], s[12:13]
	v_cndmask_b32_e64 v25, v34, v54, s[4:5]
	s_and_b64 s[4:5], s[72:73], s[16:17]
	v_cndmask_b32_e64 v42, v14, v53, s[34:35]
	v_cndmask_b32_e64 v14, v19, v20, s[34:35]
	v_or_b32_e32 v20, 0x800000, v22
	v_cmp_eq_u32_e64 s[36:37], 0, v23
	v_cndmask_b32_e64 v61, v30, 0, s[4:5]
	s_and_b64 s[4:5], s[70:71], s[14:15]
	v_sub_u32_e64 v19, s68, v23 clamp
	v_cndmask_b32_e64 v20, v20, v22, s[36:37]
	v_cndmask_b32_e64 v62, v31, 0, s[4:5]
	v_add_u32_e32 v31, 0xffffff89, v23
	v_lshrrev_b64 v[22:23], v36, v[26:27]
	v_cndmask_b32_e64 v44, v19, v53, s[36:37]
	v_add_u32_e32 v30, 0xffffff89, v18
	v_lshrrev_b64 v[18:19], v38, v[28:29]
	v_lshrrev_b32_e32 v27, 23, v22
	v_cndmask_b32_e64 v24, v40, v54, s[6:7]
	v_add3_u32 v34, v25, v36, v27
	v_lshrrev_b32_e32 v25, 23, v18
	v_cmp_eq_u32_e64 s[10:11], 0, v32
	s_and_b64 s[14:15], s[26:27], s[30:31]
	v_add3_u32 v63, v24, v38, v25
	v_lshrrev_b64 v[24:25], v42, v[14:15]
	v_mov_b32_e32 v47, v15
	v_and_b32_sdwa v59, v32, s67 dst_sel:DWORD dst_unused:UNUSED_PAD src0_sel:BYTE_3 src1_sel:DWORD
	v_cmp_ne_u32_e64 s[12:13], 0, v32
	v_or_b32_sdwa v32, v32, s69 dst_sel:DWORD dst_unused:UNUSED_PAD src0_sel:BYTE_3 src1_sel:DWORD
	v_cndmask_b32_e64 v26, v30, v54, s[34:35]
	v_and_b32_e32 v46, 0x100000, v22
	s_and_b64 s[10:11], s[14:15], s[10:11]
	v_add_u32_e32 v27, 20, v44
	v_lshrrev_b32_e32 v30, 23, v24
	v_cndmask_b32_e64 v32, v32, 0, s[10:11]
	s_and_b64 s[10:11], s[14:15], s[12:13]
	v_cmp_eq_u64_e64 s[12:13], 0, v[46:47]
	v_add3_u32 v46, v26, v42, v30
	v_lshlrev_b64 v[26:27], v27, -1
	v_not_b32_e32 v26, v26
	v_and_b32_e32 v36, v20, v26
	v_lshrrev_b64 v[20:21], v44, v[20:21]
	v_cndmask_b32_e64 v28, v31, v54, s[36:37]
	v_add_u32_e32 v29, 20, v42
	v_lshrrev_b32_e32 v26, 23, v20
	v_cmp_eq_u32_e64 s[8:9], 0, v33
	s_and_b64 s[16:17], s[24:25], s[28:29]
	v_add3_u32 v47, v28, v44, v26
	v_lshlrev_b64 v[26:27], v29, -1
	v_mov_b32_e32 v41, v15
	v_and_b32_sdwa v60, v33, s67 dst_sel:DWORD dst_unused:UNUSED_PAD src0_sel:BYTE_3 src1_sel:DWORD
	v_cmp_ne_u32_e64 s[22:23], 0, v33
	v_or_b32_sdwa v33, v33, s69 dst_sel:DWORD dst_unused:UNUSED_PAD src0_sel:BYTE_3 src1_sel:DWORD
	s_and_b64 s[8:9], s[16:17], s[8:9]
	v_add_u32_e32 v30, 19, v42
	v_add_u32_e32 v31, 19, v44
	v_not_b32_e32 v26, v26
	v_and_b32_e32 v40, 0x100000, v20
	s_and_b64 s[0:1], s[12:13], s[0:1]
	v_mov_b32_e32 v39, v15
	v_mov_b32_e32 v45, v15
	v_cndmask_b32_e64 v33, v33, 0, s[8:9]
	s_and_b64 s[8:9], s[16:17], s[22:23]
	v_lshlrev_b64 v[28:29], v31, 1
	v_and_b32_e32 v44, 0x100000, v24
	v_lshlrev_b64 v[30:31], v30, 1
	v_cmp_eq_u64_e64 s[16:17], 0, v[40:41]
	v_and_b32_e32 v38, v14, v26
	v_subbrev_co_u32_e64 v41, s[0:1], 0, v22, s[0:1]
	v_cmp_eq_u64_e64 s[14:15], 0, v[44:45]
	v_cmp_eq_u64_e64 s[0:1], v[38:39], v[30:31]
	v_mov_b32_e32 v37, v15
	s_and_b64 s[0:1], s[14:15], s[0:1]
	v_cmp_eq_u64_e64 s[12:13], v[36:37], v[28:29]
	v_subbrev_co_u32_e64 v28, s[0:1], 0, v24, s[0:1]
	v_and_b32_e32 v14, 0x100000, v18
	s_and_b64 s[0:1], s[16:17], s[12:13]
	v_cmp_eq_u64_e64 s[22:23], 0, v[14:15]
	v_subbrev_co_u32_e64 v29, s[0:1], 0, v20, s[0:1]
	s_and_b64 s[0:1], s[22:23], s[2:3]
	v_and_b32_e32 v14, 0xfffff, v41
	v_subbrev_co_u32_e64 v30, s[0:1], 0, v18, s[0:1]
	v_add_co_u32_e64 v22, s[0:1], v14, v22
	v_addc_co_u32_e64 v23, s[0:1], 0, v23, s[0:1]
	v_and_b32_e32 v28, 0xfffff, v28
	v_add_co_u32_e64 v24, s[0:1], v28, v24
	v_and_b32_e32 v29, 0xfffff, v29
	v_addc_co_u32_e64 v25, s[0:1], 0, v25, s[0:1]
	v_add_co_u32_e64 v20, s[0:1], v29, v20
	v_and_b32_e32 v14, 0xfffff, v30
	v_addc_co_u32_e64 v21, s[0:1], 0, v21, s[0:1]
	v_add_co_u32_e64 v18, s[0:1], v14, v18
	v_mov_b32_e32 v49, v15
	v_add_u32_e32 v42, -1, v34
	v_and_b32_e32 v48, 0x1000000, v22
	v_addc_co_u32_e64 v19, s[0:1], 0, v19, s[0:1]
	s_and_b64 s[6:7], s[72:73], s[20:21]
	s_and_b64 s[4:5], s[70:71], s[18:19]
	v_cmp_ne_u32_e64 s[18:19], 0, v42
	v_cmp_eq_u64_e64 s[0:1], 0, v[48:49]
	v_add_u32_e32 v27, -1, v63
	v_bfe_u32 v30, v22, 23, 1
	v_cndmask_b32_e64 v28, v34, v42, s[0:1]
	s_and_b64 s[0:1], s[6:7], s[18:19]
	v_and_b32_e32 v14, 0x1000000, v18
	v_cmp_ne_u32_e64 s[20:21], 0, v27
	v_add_u32_e32 v26, -1, v47
	v_and_b32_e32 v42, 0x1000000, v20
	v_cndmask_b32_e64 v28, v30, v28, s[0:1]
	v_cndmask_b32_e64 v30, 0, 1, s[0:1]
	v_cmp_eq_u64_e64 s[0:1], 0, v[14:15]
	v_add_u32_e32 v40, -1, v46
	v_cmp_ne_u32_e64 s[26:27], 0, v26
	v_bfe_u32 v29, v18, 23, 1
	v_cndmask_b32_e64 v14, v63, v27, s[0:1]
	s_and_b64 s[0:1], s[4:5], s[20:21]
	v_cmp_eq_u64_e64 s[2:3], 0, v[42:43]
	v_and_b32_sdwa v30, v30, v22 dst_sel:DWORD dst_unused:UNUSED_PAD src0_sel:DWORD src1_sel:BYTE_3
	v_cmp_ne_u32_e64 s[24:25], 0, v40
	v_bfe_u32 v31, v20, 23, 1
	v_cndmask_b32_e64 v26, v47, v26, s[2:3]
	s_and_b64 s[2:3], s[10:11], s[26:27]
	v_cndmask_b32_e64 v14, v29, v14, s[0:1]
	v_cndmask_b32_e64 v29, 0, 1, s[0:1]
	v_lshrrev_b64 v[22:23], v30, v[22:23]
	v_and_b32_e32 v34, 0x1000000, v24
	s_and_b64 s[14:15], s[8:9], s[24:25]
	v_cndmask_b32_e64 v26, v31, v26, s[2:3]
	v_cndmask_b32_e64 v31, 0, 1, s[2:3]
	v_and_b32_sdwa v29, v29, v18 dst_sel:DWORD dst_unused:UNUSED_PAD src0_sel:DWORD src1_sel:BYTE_3
	v_lshrrev_b64 v[22:23], 20, v[22:23]
	v_cmp_gt_i32_e64 s[16:17], 16, v28
	v_cmp_eq_u64_e64 s[12:13], 0, v[34:35]
	v_min_i32_e32 v34, 15, v28
	v_cndmask_b32_e64 v35, 0, 1, s[14:15]
	v_and_b32_sdwa v31, v31, v20 dst_sel:DWORD dst_unused:UNUSED_PAD src0_sel:DWORD src1_sel:BYTE_3
	v_lshrrev_b64 v[18:19], v29, v[18:19]
	v_cndmask_b32_e64 v23, 0, v23, s[16:17]
	v_cndmask_b32_e64 v22, 7, v22, s[16:17]
	v_bfe_u32 v36, v24, 23, 1
	v_cndmask_b32_e64 v27, v46, v40, s[12:13]
	v_cmp_eq_u32_e64 s[12:13], 0, v28
	v_lshl_or_b32 v30, v34, 3, v58
	v_and_b32_sdwa v34, v35, v24 dst_sel:DWORD dst_unused:UNUSED_PAD src0_sel:DWORD src1_sel:BYTE_3
	v_lshrrev_b64 v[20:21], v31, v[20:21]
	v_lshrrev_b64 v[18:19], 20, v[18:19]
	v_cmp_gt_i32_e64 s[18:19], 16, v14
	v_cmp_eq_u64_e64 s[20:21], 0, v[22:23]
	v_cndmask_b32_e64 v27, v36, v27, s[14:15]
	v_min_i32_e32 v35, 15, v14
	v_cmp_eq_u32_e64 s[0:1], 0, v14
	v_lshrrev_b64 v[24:25], v34, v[24:25]
	v_lshrrev_b64 v[20:21], 20, v[20:21]
	v_cmp_gt_i32_e64 s[16:17], 16, v26
	v_and_or_b32 v14, v22, 7, v30
	v_cndmask_b32_e64 v19, 0, v19, s[18:19]
	v_cndmask_b32_e64 v18, 7, v18, s[18:19]
	s_and_b64 s[12:13], s[12:13], s[20:21]
	v_min_i32_e32 v36, 15, v26
	v_lshl_or_b32 v31, v35, 3, v57
	v_lshrrev_b64 v[24:25], 20, v[24:25]
	v_cmp_gt_i32_e64 s[22:23], 16, v27
	v_cndmask_b32_e64 v21, 0, v21, s[16:17]
	v_cndmask_b32_e64 v20, 7, v20, s[16:17]
	;; [unrolled: 1-line block ×3, first 2 shown]
	v_cmp_eq_u64_e64 s[12:13], 0, v[18:19]
	v_min_i32_e32 v37, 15, v27
	v_cmp_eq_u32_e64 s[2:3], 0, v26
	v_lshl_or_b32 v29, v36, 3, v59
	v_cndmask_b32_e64 v23, 0, v25, s[22:23]
	v_cndmask_b32_e64 v22, 7, v24, s[22:23]
	v_cmp_eq_u64_e64 s[16:17], 0, v[20:21]
	v_and_or_b32 v18, v18, 7, v31
	s_and_b64 s[0:1], s[0:1], s[12:13]
	v_cmp_eq_u32_e64 s[14:15], 0, v27
	v_lshl_or_b32 v28, v37, 3, v60
	v_cmp_eq_u64_e64 s[18:19], 0, v[22:23]
	v_and_or_b32 v19, v20, 7, v29
	v_cndmask_b32_e64 v18, v18, 0, s[0:1]
	s_and_b64 s[0:1], s[2:3], s[16:17]
	v_and_or_b32 v20, v22, 7, v28
	v_cndmask_b32_e64 v19, v19, 0, s[0:1]
	s_and_b64 s[0:1], s[14:15], s[18:19]
	v_add_co_u32_e32 v16, vcc, -4, v16
	v_cndmask_b32_e64 v20, v20, 0, s[0:1]
	v_addc_co_u32_e32 v17, vcc, -1, v17, vcc
	v_cndmask_b32_e64 v14, v61, v14, s[6:7]
	v_cndmask_b32_e64 v20, v33, v20, s[8:9]
	v_add_co_u32_e32 v6, vcc, s61, v6
	v_lshlrev_b16_e32 v14, 8, v14
	v_cndmask_b32_e64 v19, v32, v19, s[10:11]
	v_cndmask_b32_e64 v18, v62, v18, s[4:5]
	v_lshlrev_b16_e32 v20, 8, v20
	v_addc_co_u32_e32 v7, vcc, v7, v55, vcc
	v_or_b32_sdwa v14, v18, v14 dst_sel:WORD_1 dst_unused:UNUSED_PAD src0_sel:BYTE_0 src1_sel:DWORD
	v_or_b32_sdwa v18, v19, v20 dst_sel:DWORD dst_unused:UNUSED_PAD src0_sel:BYTE_0 src1_sel:DWORD
	v_cmp_eq_u64_e32 vcc, 0, v[16:17]
	v_or_b32_sdwa v14, v18, v14 dst_sel:DWORD dst_unused:UNUSED_PAD src0_sel:WORD_0 src1_sel:DWORD
	s_or_b64 s[54:55], vcc, s[54:55]
	global_store_dword v[8:9], v14, off
	v_add_co_u32_e32 v8, vcc, s62, v8
	v_addc_co_u32_e32 v9, vcc, v9, v56, vcc
	s_andn2_b64 exec, exec, s[54:55]
	s_cbranch_execnz .LBB3_95
; %bb.96:
	s_or_b64 exec, exec, s[54:55]
	v_mad_u64_u32 v[0:1], s[0:1], v4, s60, v[0:1]
	v_mov_b32_e32 v6, v1
	v_mad_u64_u32 v[6:7], s[0:1], v5, s60, v[6:7]
	v_cmp_ne_u64_e32 vcc, v[2:3], v[4:5]
	s_andn2_b64 s[0:1], s[46:47], exec
	s_and_b64 s[2:3], vcc, exec
	v_mov_b32_e32 v1, v6
	v_pk_mov_b32 v[6:7], s[52:53], s[52:53] op_sel:[0,1]
	v_pk_mov_b32 v[8:9], s[50:51], s[50:51] op_sel:[0,1]
	s_or_b64 s[46:47], s[0:1], s[2:3]
.LBB3_97:
	s_or_b64 exec, exec, s[48:49]
	s_and_b64 exec, exec, s[46:47]
	s_cbranch_execz .LBB3_110
; %bb.98:
	v_lshlrev_b64 v[2:3], 1, v[0:1]
	s_add_u32 s14, s40, s44
	v_mov_b32_e32 v4, s43
	v_add_co_u32_e32 v2, vcc, s42, v2
	s_addc_u32 s15, s41, s45
	v_addc_co_u32_e32 v3, vcc, v4, v3, vcc
	s_lshl_b32 s16, s60, 1
	s_mov_b32 s17, 0
	s_mov_b64 s[2:3], 0
	s_mov_b32 s18, 0x3fb8aa3b
	s_mov_b32 s19, 0x32a5705f
	s_mov_b32 s20, 0xc2ce8ed0
	s_mov_b32 s21, 0x42b17218
	v_mov_b32_e32 v11, 0x7f800000
	v_mov_b32_e32 v5, 0
	s_movk_i32 s22, 0x7f
	s_mov_b64 s[4:5], 0x7f800000
	s_mov_b64 s[6:7], 0x43700001
	s_movk_i32 s23, 0x78
	s_movk_i32 s24, 0x80
	v_mov_b32_e32 v14, 0x77
	v_mov_b32_e32 v15, 0xffffff8a
	s_branch .LBB3_103
.LBB3_99:                               ;   in Loop: Header=BB3_103 Depth=1
	s_or_b64 exec, exec, s[0:1]
	v_lshrrev_b64 v[12:13], 20, v[12:13]
	v_cmp_gt_i32_e32 vcc, 16, v4
	v_and_b32_sdwa v16, v16, s24 dst_sel:DWORD dst_unused:UNUSED_PAD src0_sel:BYTE_3 src1_sel:DWORD
	v_min_i32_e32 v17, 15, v4
	v_cndmask_b32_e32 v13, 0, v13, vcc
	v_cndmask_b32_e32 v12, 7, v12, vcc
	v_cmp_eq_u32_e32 vcc, 0, v4
	v_cmp_eq_u64_e64 s[0:1], 0, v[12:13]
	v_lshl_or_b32 v4, v17, 3, v16
	v_and_or_b32 v4, v12, 7, v4
	s_and_b64 s[0:1], vcc, s[0:1]
	v_cndmask_b32_e64 v12, v4, 0, s[0:1]
.LBB3_100:                              ;   in Loop: Header=BB3_103 Depth=1
	s_or_b64 exec, exec, s[12:13]
.LBB3_101:                              ;   in Loop: Header=BB3_103 Depth=1
	s_andn2_saveexec_b64 s[0:1], s[10:11]
	s_or_b64 exec, exec, s[0:1]
.LBB3_102:                              ;   in Loop: Header=BB3_103 Depth=1
	s_andn2_saveexec_b64 s[0:1], s[8:9]
	s_or_b64 exec, exec, s[0:1]
	v_mov_b32_e32 v4, s15
	v_add_co_u32_e32 v16, vcc, s14, v0
	v_addc_co_u32_e32 v17, vcc, v4, v1, vcc
	v_mov_b32_e32 v4, s33
	v_add_co_u32_e32 v0, vcc, s60, v0
	v_addc_co_u32_e32 v1, vcc, v1, v4, vcc
	v_cmp_le_i64_e32 vcc, s[38:39], v[0:1]
	v_mov_b32_e32 v4, s17
	s_or_b64 s[2:3], vcc, s[2:3]
	v_add_co_u32_e32 v2, vcc, s16, v2
	v_addc_co_u32_e32 v3, vcc, v3, v4, vcc
	global_store_byte v[16:17], v12, off
	s_andn2_b64 exec, exec, s[2:3]
	s_cbranch_execz .LBB3_110
.LBB3_103:                              ; =>This Inner Loop Header: Depth=1
	v_add_co_u32_e32 v12, vcc, v2, v8
	v_addc_co_u32_e32 v13, vcc, v3, v9, vcc
	global_load_ushort v4, v[12:13], off
	v_add_co_u32_e32 v12, vcc, v2, v6
	v_addc_co_u32_e32 v13, vcc, v3, v7, vcc
	global_load_ushort v12, v[12:13], off
	s_waitcnt vmcnt(1)
	v_cvt_f32_f16_e64 v13, -v4
	v_mul_f32_e32 v16, 0x3fb8aa3b, v13
	v_fma_mix_f32 v17, -v4, s18, -v16 op_sel_hi:[1,0,0]
	v_rndne_f32_e32 v18, v16
	v_fma_mix_f32 v17, -v4, s19, v17 op_sel_hi:[1,0,0]
	v_sub_f32_e32 v16, v16, v18
	v_add_f32_e32 v16, v16, v17
	v_cvt_i32_f32_e32 v18, v18
	v_exp_f32_e32 v16, v16
	v_cvt_f32_f16_e32 v4, v4
	v_cmp_ngt_f32_e32 vcc, s20, v13
	v_ldexp_f32 v16, v16, v18
	v_cndmask_b32_e32 v16, 0, v16, vcc
	v_cmp_nlt_f32_e32 vcc, s21, v13
	v_cndmask_b32_e32 v13, v11, v16, vcc
	v_add_f32_e32 v13, 1.0, v13
	v_div_scale_f32 v16, s[0:1], v13, v13, v4
	v_rcp_f32_e32 v17, v16
	v_div_scale_f32 v18, vcc, v4, v13, v4
	v_fma_f32 v19, -v16, v17, 1.0
	v_fmac_f32_e32 v17, v19, v17
	v_mul_f32_e32 v19, v18, v17
	v_fma_f32 v20, -v16, v19, v18
	v_fmac_f32_e32 v19, v20, v17
	v_fma_f32 v16, -v16, v19, v18
	v_div_fmas_f32 v16, v16, v17, v19
	v_div_fixup_f32 v4, v16, v13, v4
	v_cvt_f16_f32_e32 v4, v4
	s_waitcnt vmcnt(0)
	v_mul_f16_e32 v4, v12, v4
	v_cvt_f32_f16_e32 v4, v4
	v_mul_f32_e32 v4, v10, v4
	v_min_f32_e32 v4, 0x43600000, v4
	v_max_f32_e32 v16, 0xc3600000, v4
	v_and_b32_e32 v4, 0x7f800000, v16
	v_or_b32_sdwa v12, v16, s22 dst_sel:DWORD dst_unused:UNUSED_PAD src0_sel:BYTE_3 src1_sel:DWORD
	v_cmp_ne_u64_e32 vcc, s[4:5], v[4:5]
                                        ; kill: def $vgpr4 killed $sgpr0 killed $exec
	s_and_saveexec_b64 s[0:1], vcc
	s_xor_b64 s[8:9], exec, s[0:1]
	s_cbranch_execz .LBB3_102
; %bb.104:                              ;   in Loop: Header=BB3_103 Depth=1
	v_and_b32_e32 v4, 0x7fffffff, v16
	v_cmp_gt_u64_e32 vcc, s[6:7], v[4:5]
                                        ; kill: def $vgpr4 killed $sgpr0 killed $exec
	s_and_saveexec_b64 s[0:1], vcc
	s_xor_b64 s[10:11], exec, s[0:1]
	s_cbranch_execz .LBB3_101
; %bb.105:                              ;   in Loop: Header=BB3_103 Depth=1
	v_cmp_ne_u32_e32 vcc, 0, v16
	v_mov_b32_e32 v12, 0
	s_and_saveexec_b64 s[12:13], vcc
	s_cbranch_execz .LBB3_100
; %bb.106:                              ;   in Loop: Header=BB3_103 Depth=1
	v_bfe_u32 v12, v16, 23, 8
	v_sub_u32_e64 v13, s23, v12 clamp
	v_cmp_eq_u32_e32 vcc, 0, v12
	v_cndmask_b32_e32 v21, v13, v14, vcc
	v_and_b32_e32 v4, 0x7fffff, v16
	v_add_u32_e32 v20, 0xffffff89, v12
	v_add_u32_e32 v12, 20, v21
	v_or_b32_e32 v17, 0x800000, v4
	v_lshlrev_b64 v[12:13], v12, -1
	v_cndmask_b32_e32 v4, v17, v4, vcc
	v_not_b32_e32 v12, v12
	v_add_u32_e32 v17, 19, v21
	v_and_b32_e32 v12, v4, v12
	v_mov_b32_e32 v13, v5
	v_lshlrev_b64 v[18:19], v17, 1
	v_cmp_eq_u64_e64 s[0:1], v[12:13], v[18:19]
	v_lshrrev_b64 v[12:13], v21, v[4:5]
	v_cndmask_b32_e32 v4, v20, v15, vcc
	v_lshrrev_b32_e32 v17, 23, v12
	v_add3_u32 v17, v4, v21, v17
	v_and_b32_e32 v4, 0x100000, v12
	v_cmp_eq_u64_e32 vcc, 0, v[4:5]
	s_and_b64 vcc, vcc, s[0:1]
	v_subbrev_co_u32_e32 v4, vcc, 0, v12, vcc
	v_and_b32_e32 v4, 0xfffff, v4
	v_add_co_u32_e32 v12, vcc, v4, v12
	v_add_u32_e32 v18, -1, v17
	v_addc_co_u32_e32 v13, vcc, 0, v13, vcc
	v_cmp_ne_u32_e32 vcc, 0, v18
                                        ; implicit-def: $vgpr4
	s_and_saveexec_b64 s[0:1], vcc
	s_xor_b64 s[0:1], exec, s[0:1]
; %bb.107:                              ;   in Loop: Header=BB3_103 Depth=1
	v_and_b32_e32 v4, 0x1000000, v12
	v_cmp_eq_u64_e32 vcc, 0, v[4:5]
	v_cndmask_b32_e32 v4, v17, v18, vcc
	v_bfe_u32 v17, v12, 24, 1
	v_lshrrev_b64 v[12:13], v17, v[12:13]
; %bb.108:                              ;   in Loop: Header=BB3_103 Depth=1
	s_andn2_saveexec_b64 s[0:1], s[0:1]
	s_cbranch_execz .LBB3_99
; %bb.109:                              ;   in Loop: Header=BB3_103 Depth=1
	v_bfe_u32 v4, v12, 23, 1
	s_branch .LBB3_99
.LBB3_110:
	s_endpgm
	.section	.rodata,"a",@progbits
	.p2align	6, 0x0
	.amdhsa_kernel _ZN4vllm24act_and_mul_quant_kernelIN3c104HalfETnPFT_RKS3_EXadL_ZNS_11silu_kernelIS2_EES3_S5_EENS1_15Float8_e4m3fnuzEEEvPT1_PS4_PKfi
		.amdhsa_group_segment_fixed_size 0
		.amdhsa_private_segment_fixed_size 0
		.amdhsa_kernarg_size 288
		.amdhsa_user_sgpr_count 6
		.amdhsa_user_sgpr_private_segment_buffer 1
		.amdhsa_user_sgpr_dispatch_ptr 0
		.amdhsa_user_sgpr_queue_ptr 0
		.amdhsa_user_sgpr_kernarg_segment_ptr 1
		.amdhsa_user_sgpr_dispatch_id 0
		.amdhsa_user_sgpr_flat_scratch_init 0
		.amdhsa_user_sgpr_kernarg_preload_length 0
		.amdhsa_user_sgpr_kernarg_preload_offset 0
		.amdhsa_user_sgpr_private_segment_size 0
		.amdhsa_uses_dynamic_stack 0
		.amdhsa_system_sgpr_private_segment_wavefront_offset 0
		.amdhsa_system_sgpr_workgroup_id_x 1
		.amdhsa_system_sgpr_workgroup_id_y 1
		.amdhsa_system_sgpr_workgroup_id_z 0
		.amdhsa_system_sgpr_workgroup_info 0
		.amdhsa_system_vgpr_workitem_id 0
		.amdhsa_next_free_vgpr 64
		.amdhsa_next_free_sgpr 74
		.amdhsa_accum_offset 64
		.amdhsa_reserve_vcc 1
		.amdhsa_reserve_flat_scratch 0
		.amdhsa_float_round_mode_32 0
		.amdhsa_float_round_mode_16_64 0
		.amdhsa_float_denorm_mode_32 3
		.amdhsa_float_denorm_mode_16_64 3
		.amdhsa_dx10_clamp 1
		.amdhsa_ieee_mode 1
		.amdhsa_fp16_overflow 0
		.amdhsa_tg_split 0
		.amdhsa_exception_fp_ieee_invalid_op 0
		.amdhsa_exception_fp_denorm_src 0
		.amdhsa_exception_fp_ieee_div_zero 0
		.amdhsa_exception_fp_ieee_overflow 0
		.amdhsa_exception_fp_ieee_underflow 0
		.amdhsa_exception_fp_ieee_inexact 0
		.amdhsa_exception_int_div_zero 0
	.end_amdhsa_kernel
	.section	.text._ZN4vllm24act_and_mul_quant_kernelIN3c104HalfETnPFT_RKS3_EXadL_ZNS_11silu_kernelIS2_EES3_S5_EENS1_15Float8_e4m3fnuzEEEvPT1_PS4_PKfi,"axG",@progbits,_ZN4vllm24act_and_mul_quant_kernelIN3c104HalfETnPFT_RKS3_EXadL_ZNS_11silu_kernelIS2_EES3_S5_EENS1_15Float8_e4m3fnuzEEEvPT1_PS4_PKfi,comdat
.Lfunc_end3:
	.size	_ZN4vllm24act_and_mul_quant_kernelIN3c104HalfETnPFT_RKS3_EXadL_ZNS_11silu_kernelIS2_EES3_S5_EENS1_15Float8_e4m3fnuzEEEvPT1_PS4_PKfi, .Lfunc_end3-_ZN4vllm24act_and_mul_quant_kernelIN3c104HalfETnPFT_RKS3_EXadL_ZNS_11silu_kernelIS2_EES3_S5_EENS1_15Float8_e4m3fnuzEEEvPT1_PS4_PKfi
                                        ; -- End function
	.section	.AMDGPU.csdata,"",@progbits
; Kernel info:
; codeLenInByte = 10324
; NumSgprs: 78
; NumVgprs: 64
; NumAgprs: 0
; TotalNumVgprs: 64
; ScratchSize: 0
; MemoryBound: 0
; FloatMode: 240
; IeeeMode: 1
; LDSByteSize: 0 bytes/workgroup (compile time only)
; SGPRBlocks: 9
; VGPRBlocks: 7
; NumSGPRsForWavesPerEU: 78
; NumVGPRsForWavesPerEU: 64
; AccumOffset: 64
; Occupancy: 8
; WaveLimiterHint : 0
; COMPUTE_PGM_RSRC2:SCRATCH_EN: 0
; COMPUTE_PGM_RSRC2:USER_SGPR: 6
; COMPUTE_PGM_RSRC2:TRAP_HANDLER: 0
; COMPUTE_PGM_RSRC2:TGID_X_EN: 1
; COMPUTE_PGM_RSRC2:TGID_Y_EN: 1
; COMPUTE_PGM_RSRC2:TGID_Z_EN: 0
; COMPUTE_PGM_RSRC2:TIDIG_COMP_CNT: 0
; COMPUTE_PGM_RSRC3_GFX90A:ACCUM_OFFSET: 15
; COMPUTE_PGM_RSRC3_GFX90A:TG_SPLIT: 0
	.section	.text._ZN4vllm24act_and_mul_quant_kernelIN3c108BFloat16ETnPFT_RKS3_EXadL_ZNS_11silu_kernelIS2_EES3_S5_EENS1_13Float8_e4m3fnEEEvPT1_PS4_PKfi,"axG",@progbits,_ZN4vllm24act_and_mul_quant_kernelIN3c108BFloat16ETnPFT_RKS3_EXadL_ZNS_11silu_kernelIS2_EES3_S5_EENS1_13Float8_e4m3fnEEEvPT1_PS4_PKfi,comdat
	.protected	_ZN4vllm24act_and_mul_quant_kernelIN3c108BFloat16ETnPFT_RKS3_EXadL_ZNS_11silu_kernelIS2_EES3_S5_EENS1_13Float8_e4m3fnEEEvPT1_PS4_PKfi ; -- Begin function _ZN4vllm24act_and_mul_quant_kernelIN3c108BFloat16ETnPFT_RKS3_EXadL_ZNS_11silu_kernelIS2_EES3_S5_EENS1_13Float8_e4m3fnEEEvPT1_PS4_PKfi
	.globl	_ZN4vllm24act_and_mul_quant_kernelIN3c108BFloat16ETnPFT_RKS3_EXadL_ZNS_11silu_kernelIS2_EES3_S5_EENS1_13Float8_e4m3fnEEEvPT1_PS4_PKfi
	.p2align	8
	.type	_ZN4vllm24act_and_mul_quant_kernelIN3c108BFloat16ETnPFT_RKS3_EXadL_ZNS_11silu_kernelIS2_EES3_S5_EENS1_13Float8_e4m3fnEEEvPT1_PS4_PKfi,@function
_ZN4vllm24act_and_mul_quant_kernelIN3c108BFloat16ETnPFT_RKS3_EXadL_ZNS_11silu_kernelIS2_EES3_S5_EENS1_13Float8_e4m3fnEEEvPT1_PS4_PKfi: ; @_ZN4vllm24act_and_mul_quant_kernelIN3c108BFloat16ETnPFT_RKS3_EXadL_ZNS_11silu_kernelIS2_EES3_S5_EENS1_13Float8_e4m3fnEEEvPT1_PS4_PKfi
; %bb.0:
	s_load_dword s1, s[4:5], 0x24
	s_load_dword s22, s[4:5], 0x18
	s_add_u32 s2, s4, 32
	s_mov_b32 s0, s7
	s_addc_u32 s3, s5, 0
	s_waitcnt lgkmcnt(0)
	s_abs_i32 s7, s1
	v_cvt_f32_u32_e32 v1, s7
	s_sub_i32 s9, 0, s7
	s_add_i32 s8, s22, s1
	s_add_i32 s8, s8, -1
	v_rcp_iflag_f32_e32 v1, v1
	s_xor_b32 s1, s8, s1
	s_abs_i32 s8, s8
	s_ashr_i32 s1, s1, 31
	v_mul_f32_e32 v1, 0x4f7ffffe, v1
	v_cvt_u32_f32_e32 v1, v1
	s_load_dwordx4 s[52:55], s[4:5], 0x0
	v_readfirstlane_b32 s10, v1
	s_mul_i32 s9, s9, s10
	s_mul_hi_u32 s9, s10, s9
	s_add_i32 s10, s10, s9
	s_mul_hi_u32 s9, s8, s10
	s_mul_i32 s10, s9, s7
	s_sub_i32 s8, s8, s10
	s_add_i32 s10, s9, 1
	s_sub_i32 s11, s8, s7
	s_cmp_ge_u32 s8, s7
	s_cselect_b32 s9, s10, s9
	s_cselect_b32 s8, s11, s8
	s_add_i32 s10, s9, 1
	s_cmp_ge_u32 s8, s7
	s_cselect_b32 s7, s10, s9
	s_xor_b32 s7, s7, s1
	s_sub_i32 s1, s7, s1
	s_and_b32 s7, s1, 7
	s_cmp_eq_u32 s7, 0
	s_mov_b32 s7, 0
	s_cbranch_scc1 .LBB4_2
; %bb.1:
	s_ashr_i32 s8, s1, 31
	s_lshr_b32 s8, s8, 29
	s_add_i32 s1, s1, s8
	s_and_b32 s1, s1, -8
	s_add_i32 s1, s1, 8
.LBB4_2:
	s_mul_i32 s8, s1, s0
	s_add_i32 s0, s8, s1
	s_min_i32 s56, s0, s22
	s_abs_i32 s9, s56
	v_cvt_f32_u32_e32 v1, s9
	s_load_dwordx2 s[0:1], s[4:5], 0x10
	s_ashr_i32 s23, s22, 31
	s_mul_hi_u32 s4, s22, s6
	v_rcp_iflag_f32_e32 v1, v1
	s_mul_i32 s5, s23, s6
	s_add_i32 s59, s4, s5
	s_sub_i32 s4, 0, s9
	v_mul_f32_e32 v1, 0x4f7ffffe, v1
	v_cvt_u32_f32_e32 v1, v1
	s_waitcnt lgkmcnt(0)
	s_load_dword s5, s[0:1], 0x0
	s_mul_i32 s58, s22, s6
	v_readfirstlane_b32 s0, v1
	s_mul_i32 s4, s4, s0
	s_mul_hi_u32 s1, s0, s4
	s_add_i32 s0, s0, s1
	s_lshr_b32 s0, s0, 29
	s_mul_i32 s0, s0, s9
	s_sub_i32 s0, 8, s0
	s_sub_i32 s1, s0, s9
	s_cmp_ge_u32 s0, s9
	s_cselect_b32 s0, s1, s0
	s_sub_i32 s1, s0, s9
	s_cmp_ge_u32 s0, s9
	s_cselect_b32 s24, s1, s0
	s_cmp_eq_u32 s24, 0
	s_cselect_b64 s[0:1], -1, 0
	v_cndmask_b32_e64 v11, 0, 1, s[0:1]
	s_waitcnt lgkmcnt(0)
	v_div_scale_f32 v1, s[0:1], s5, s5, 1.0
	v_rcp_f32_e32 v2, v1
	s_ashr_i32 s4, s8, 31
	s_lshr_b32 s0, s4, 29
	s_add_i32 s8, s8, s0
	v_fma_f32 v3, -v1, v2, 1.0
	v_fmac_f32_e32 v2, v3, v2
	v_div_scale_f32 v3, vcc, 1.0, s5, 1.0
	v_mul_f32_e32 v4, v3, v2
	v_fma_f32 v5, -v1, v4, v3
	v_fmac_f32_e32 v4, v5, v2
	s_ashr_i32 s0, s8, 3
	v_fma_f32 v1, -v1, v4, v3
	v_div_fmas_f32 v1, v1, v2, v4
	v_add_u32_e32 v13, s0, v0
	v_div_fixup_f32 v10, v1, s5, 1.0
	v_cmp_lt_i32_e32 vcc, v13, v11
	s_and_saveexec_b64 s[4:5], vcc
	s_cbranch_execz .LBB4_133
; %bb.3:
	s_load_dword s1, s[2:3], 0xc
	s_ashr_i32 s10, s0, 31
	v_add_co_u32_e32 v2, vcc, s0, v0
	v_mov_b32_e32 v1, s10
	s_waitcnt lgkmcnt(0)
	s_and_b32 s26, s1, 0xffff
	s_lshl_b64 s[0:1], s[6:7], 2
	s_or_b32 s0, s0, 2
	s_mul_i32 s10, s0, s23
	s_mul_hi_u32 s11, s0, s22
	v_addc_co_u32_e32 v3, vcc, 0, v1, vcc
	s_add_i32 s10, s11, s10
	s_mul_i32 s1, s1, s22
	s_lshl_b64 s[8:9], s[58:59], 2
	v_lshlrev_b64 v[4:5], 4, v[2:3]
	s_lshl_b32 s27, s26, 4
	s_add_i32 s1, s10, s1
	v_mov_b32_e32 v1, s55
	v_add_co_u32_e32 v12, vcc, s54, v4
	s_mul_i32 s28, s0, s22
	s_add_u32 s0, s52, s58
	v_addc_co_u32_e32 v1, vcc, v1, v5, vcc
	v_lshlrev_b64 v[2:3], 3, v[2:3]
	s_addc_u32 s10, s53, s59
	s_mov_b32 s25, 0
	v_mov_b32_e32 v4, s10
	v_add_co_u32_e32 v14, vcc, s0, v2
	v_addc_co_u32_e32 v15, vcc, v4, v3, vcc
	s_lshl_b32 s29, s26, 3
	s_mov_b32 s30, s25
	s_mov_b64 s[10:11], 0
	v_mov_b32_e32 v30, s9
	v_mov_b32_e32 v31, s1
	s_movk_i32 s9, 0x7fff
	v_mov_b32_e32 v32, 0x7fc00000
	s_mov_b32 s31, 0x3fb8aa3b
	s_mov_b32 s33, 0xc2ce8ed0
	;; [unrolled: 1-line block ×3, first 2 shown]
	v_mov_b32_e32 v33, 0x7f800000
	v_mov_b32_e32 v17, 0
	s_movk_i32 s35, 0x80
	s_mov_b64 s[12:13], 0x7f800000
	s_mov_b64 s[14:15], 0x43e00001
	s_movk_i32 s36, 0x79
	s_movk_i32 s37, 0x7f
	s_mov_b32 s38, 0xff00
	s_mov_b32 s39, 0x4020c0c
	v_mov_b32_e32 v34, 0x78
	v_mov_b32_e32 v35, 0xffffff89
	s_branch .LBB4_5
.LBB4_4:                                ;   in Loop: Header=BB4_5 Depth=1
	s_or_b64 exec, exec, s[0:1]
	v_lshlrev_b32_e32 v4, 16, v26
	v_lshlrev_b32_e32 v3, 24, v8
	v_and_b32_e32 v4, 0xff0000, v4
	v_or_b32_e32 v3, v3, v4
	v_lshlrev_b32_e32 v4, 8, v24
	v_and_b32_e32 v4, 0xff00, v4
	v_and_b32_e32 v5, 0xff, v6
	v_or3_b32 v3, v3, v4, v5
	v_lshlrev_b32_e32 v4, 16, v22
	v_lshlrev_b32_e32 v5, 8, v20
	v_perm_b32 v2, v2, v4, s39
	v_and_or_b32 v2, v5, s38, v2
	v_or_b32_sdwa v2, v2, v18 dst_sel:DWORD dst_unused:UNUSED_PAD src0_sel:DWORD src1_sel:BYTE_0
	global_store_dwordx2 v[14:15], v[2:3], off
	v_mov_b32_e32 v2, s25
	v_add_co_u32_e32 v12, vcc, s27, v12
	v_add_u32_e32 v13, s26, v13
	v_addc_co_u32_e32 v1, vcc, v1, v2, vcc
	v_cmp_ge_i32_e32 vcc, v13, v11
	v_mov_b32_e32 v2, s30
	s_or_b64 s[10:11], vcc, s[10:11]
	v_add_co_u32_e32 v14, vcc, s29, v14
	v_addc_co_u32_e32 v15, vcc, v15, v2, vcc
	s_andn2_b64 exec, exec, s[10:11]
	s_cbranch_execz .LBB4_133
.LBB4_5:                                ; =>This Inner Loop Header: Depth=1
	v_add_co_u32_e32 v2, vcc, s8, v12
	v_addc_co_u32_e32 v3, vcc, v1, v30, vcc
	global_load_dwordx4 v[6:9], v[2:3], off
	v_add_co_u32_e32 v2, vcc, s28, v12
	v_addc_co_u32_e32 v3, vcc, v1, v31, vcc
	global_load_dwordx4 v[2:5], v[2:3], off
	v_mov_b32_e32 v23, v17
	s_waitcnt vmcnt(1)
	v_lshlrev_b32_e32 v16, 16, v6
	v_xor_b32_e32 v18, 0x80000000, v16
	v_bfe_u32 v19, v18, 16, 1
	v_add3_u32 v18, v18, v19, s9
	v_and_b32_e32 v18, 0xffff0000, v18
	v_cmp_o_f32_e32 vcc, v16, v16
	v_cndmask_b32_e32 v18, v32, v18, vcc
	v_mul_f32_e32 v19, 0x3fb8aa3b, v18
	v_fma_f32 v20, v18, s31, -v19
	v_rndne_f32_e32 v21, v19
	v_fmac_f32_e32 v20, 0x32a5705f, v18
	v_sub_f32_e32 v19, v19, v21
	v_add_f32_e32 v19, v19, v20
	v_cvt_i32_f32_e32 v21, v21
	v_exp_f32_e32 v19, v19
	v_cmp_ngt_f32_e32 vcc, s33, v18
	v_ldexp_f32 v19, v19, v21
	v_cndmask_b32_e32 v19, 0, v19, vcc
	v_cmp_nlt_f32_e32 vcc, s34, v18
	v_cndmask_b32_e32 v18, v33, v19, vcc
	v_add_f32_e32 v18, 1.0, v18
	v_div_scale_f32 v19, s[0:1], v18, v18, v16
	v_rcp_f32_e32 v20, v19
	v_div_scale_f32 v22, vcc, v16, v18, v16
	s_waitcnt vmcnt(0)
	v_lshlrev_b32_e32 v21, 16, v2
	v_fma_f32 v24, -v19, v20, 1.0
	v_fmac_f32_e32 v20, v24, v20
	v_mul_f32_e32 v24, v22, v20
	v_fma_f32 v25, -v19, v24, v22
	v_fmac_f32_e32 v24, v25, v20
	v_fma_f32 v19, -v19, v24, v22
	v_div_fmas_f32 v19, v19, v20, v24
	v_div_fixup_f32 v16, v19, v18, v16
	v_bfe_u32 v18, v16, 16, 1
	v_add3_u32 v18, v16, v18, s9
	v_and_b32_e32 v18, 0xffff0000, v18
	v_cmp_o_f32_e32 vcc, v16, v16
	v_cndmask_b32_e32 v16, v32, v18, vcc
	v_mul_f32_e32 v16, v16, v21
	v_bfe_u32 v18, v16, 16, 1
	v_add3_u32 v18, v16, v18, s9
	v_and_b32_e32 v18, 0xffff0000, v18
	v_cmp_o_f32_e32 vcc, v16, v16
	v_cndmask_b32_e32 v16, v32, v18, vcc
	v_mul_f32_e32 v16, v10, v16
	v_min_f32_e32 v16, 0x43e00000, v16
	v_max_f32_e32 v21, 0xc3e00000, v16
	v_and_b32_sdwa v20, v21, s35 dst_sel:DWORD dst_unused:UNUSED_PAD src0_sel:BYTE_3 src1_sel:DWORD
	v_and_b32_e32 v22, 0x7f800000, v21
	v_and_b32_e32 v16, 0x7fffff, v21
	v_or_b32_e32 v18, 0x7e, v20
	v_cmp_ne_u64_e32 vcc, s[12:13], v[22:23]
	s_and_saveexec_b64 s[0:1], vcc
	s_xor_b64 s[16:17], exec, s[0:1]
	s_cbranch_execz .LBB4_19
; %bb.6:                                ;   in Loop: Header=BB4_5 Depth=1
	v_and_b32_e32 v22, 0x7fffffff, v21
	v_mov_b32_e32 v23, v17
	v_cmp_gt_u64_e32 vcc, s[14:15], v[22:23]
	s_and_saveexec_b64 s[0:1], vcc
	s_xor_b64 s[18:19], exec, s[0:1]
	s_cbranch_execz .LBB4_18
; %bb.7:                                ;   in Loop: Header=BB4_5 Depth=1
	v_cmp_ne_u32_e32 vcc, 0, v21
	v_pk_mov_b32 v[18:19], 0, 0
	s_and_saveexec_b64 s[20:21], vcc
	s_cbranch_execz .LBB4_17
; %bb.8:                                ;   in Loop: Header=BB4_5 Depth=1
	v_bfe_u32 v18, v21, 23, 8
	v_sub_u32_e64 v19, s36, v18 clamp
	v_cmp_eq_u32_e32 vcc, 0, v18
	v_cndmask_b32_e32 v25, v19, v34, vcc
	v_add_u32_e32 v24, 0xffffff88, v18
	v_add_u32_e32 v18, 20, v25
	v_or_b32_e32 v21, 0x800000, v16
	v_lshlrev_b64 v[18:19], v18, -1
	v_cndmask_b32_e32 v16, v21, v16, vcc
	v_not_b32_e32 v19, v19
	v_not_b32_e32 v18, v18
	v_add_u32_e32 v21, 19, v25
	v_and_b32_e32 v19, 0, v19
	v_and_b32_e32 v18, v16, v18
	v_lshlrev_b64 v[22:23], v21, 1
	v_cmp_eq_u64_e64 s[0:1], v[18:19], v[22:23]
	v_lshrrev_b64 v[18:19], v25, v[16:17]
	v_cndmask_b32_e32 v16, v24, v35, vcc
	v_lshrrev_b32_e32 v21, 23, v18
	v_add3_u32 v21, v16, v25, v21
	v_and_b32_e32 v16, 0x100000, v18
	v_cmp_eq_u64_e32 vcc, 0, v[16:17]
	s_and_b64 vcc, vcc, s[0:1]
	v_subbrev_co_u32_e32 v16, vcc, 0, v18, vcc
	v_and_b32_e32 v16, 0xfffff, v16
	v_add_co_u32_e32 v18, vcc, v16, v18
	v_add_u32_e32 v22, -1, v21
	v_addc_co_u32_e32 v19, vcc, 0, v19, vcc
	v_cmp_ne_u32_e32 vcc, 0, v22
                                        ; implicit-def: $vgpr16
	s_and_saveexec_b64 s[0:1], vcc
	s_xor_b64 s[0:1], exec, s[0:1]
; %bb.9:                                ;   in Loop: Header=BB4_5 Depth=1
	v_and_b32_e32 v16, 0x1000000, v18
	v_cmp_eq_u64_e32 vcc, 0, v[16:17]
	v_cndmask_b32_e32 v16, v21, v22, vcc
	v_bfe_u32 v21, v18, 24, 1
	v_lshrrev_b64 v[18:19], v21, v[18:19]
; %bb.10:                               ;   in Loop: Header=BB4_5 Depth=1
	s_andn2_saveexec_b64 s[0:1], s[0:1]
; %bb.11:                               ;   in Loop: Header=BB4_5 Depth=1
	v_bfe_u32 v16, v18, 23, 1
; %bb.12:                               ;   in Loop: Header=BB4_5 Depth=1
	s_or_b64 exec, exec, s[0:1]
	v_lshrrev_b64 v[18:19], 20, v[18:19]
	v_cmp_gt_i32_e32 vcc, 16, v16
	v_cndmask_b32_e32 v23, 0, v19, vcc
	v_cndmask_b32_e32 v22, 7, v18, vcc
	v_cmp_ne_u32_e32 vcc, 0, v16
	v_cmp_ne_u64_e64 s[0:1], 0, v[22:23]
	s_or_b64 s[0:1], vcc, s[0:1]
                                        ; implicit-def: $vgpr18_vgpr19
	s_and_saveexec_b64 s[40:41], s[0:1]
	s_xor_b64 s[0:1], exec, s[40:41]
; %bb.13:                               ;   in Loop: Header=BB4_5 Depth=1
	v_min_i32_e32 v16, 15, v16
	v_lshl_or_b32 v16, v16, 3, v20
	v_and_or_b32 v18, v22, 7, v16
                                        ; implicit-def: $vgpr20
; %bb.14:                               ;   in Loop: Header=BB4_5 Depth=1
	s_andn2_saveexec_b64 s[0:1], s[0:1]
; %bb.15:                               ;   in Loop: Header=BB4_5 Depth=1
	v_pk_mov_b32 v[18:19], v[20:21], v[20:21] op_sel:[0,1]
; %bb.16:                               ;   in Loop: Header=BB4_5 Depth=1
	s_or_b64 exec, exec, s[0:1]
.LBB4_17:                               ;   in Loop: Header=BB4_5 Depth=1
	s_or_b64 exec, exec, s[20:21]
.LBB4_18:                               ;   in Loop: Header=BB4_5 Depth=1
	s_andn2_saveexec_b64 s[0:1], s[18:19]
	s_or_b64 exec, exec, s[0:1]
                                        ; implicit-def: $vgpr21
.LBB4_19:                               ;   in Loop: Header=BB4_5 Depth=1
	s_andn2_saveexec_b64 s[0:1], s[16:17]
; %bb.20:                               ;   in Loop: Header=BB4_5 Depth=1
	v_or_b32_sdwa v19, v21, s37 dst_sel:DWORD dst_unused:UNUSED_PAD src0_sel:BYTE_3 src1_sel:DWORD
	v_cmp_eq_u64_e32 vcc, 0, v[16:17]
	v_cndmask_b32_e32 v18, v19, v18, vcc
; %bb.21:                               ;   in Loop: Header=BB4_5 Depth=1
	s_or_b64 exec, exec, s[0:1]
	v_and_b32_e32 v6, 0xffff0000, v6
	v_xor_b32_e32 v16, 0x80000000, v6
	v_bfe_u32 v19, v16, 16, 1
	v_add3_u32 v16, v16, v19, s9
	v_and_b32_e32 v16, 0xffff0000, v16
	v_cmp_o_f32_e32 vcc, v6, v6
	v_cndmask_b32_e32 v16, v32, v16, vcc
	v_mul_f32_e32 v19, 0x3fb8aa3b, v16
	v_fma_f32 v20, v16, s31, -v19
	v_rndne_f32_e32 v21, v19
	v_fmac_f32_e32 v20, 0x32a5705f, v16
	v_sub_f32_e32 v19, v19, v21
	v_add_f32_e32 v19, v19, v20
	v_exp_f32_e32 v19, v19
	v_cvt_i32_f32_e32 v20, v21
	v_cmp_ngt_f32_e32 vcc, s33, v16
	v_and_b32_e32 v2, 0xffff0000, v2
	v_ldexp_f32 v19, v19, v20
	v_cndmask_b32_e32 v19, 0, v19, vcc
	v_cmp_nlt_f32_e32 vcc, s34, v16
	v_cndmask_b32_e32 v16, v33, v19, vcc
	v_add_f32_e32 v16, 1.0, v16
	v_div_scale_f32 v19, s[0:1], v16, v16, v6
	v_rcp_f32_e32 v20, v19
	v_fma_f32 v21, -v19, v20, 1.0
	v_fmac_f32_e32 v20, v21, v20
	v_div_scale_f32 v21, vcc, v6, v16, v6
	v_mul_f32_e32 v22, v21, v20
	v_fma_f32 v23, -v19, v22, v21
	v_fmac_f32_e32 v22, v23, v20
	v_fma_f32 v19, -v19, v22, v21
	v_div_fmas_f32 v19, v19, v20, v22
	v_div_fixup_f32 v6, v19, v16, v6
	v_bfe_u32 v16, v6, 16, 1
	v_add3_u32 v16, v6, v16, s9
	v_and_b32_e32 v16, 0xffff0000, v16
	v_cmp_o_f32_e32 vcc, v6, v6
	v_cndmask_b32_e32 v6, v32, v16, vcc
	v_mul_f32_e32 v2, v6, v2
	v_bfe_u32 v6, v2, 16, 1
	v_add3_u32 v6, v2, v6, s9
	v_and_b32_e32 v6, 0xffff0000, v6
	v_cmp_o_f32_e32 vcc, v2, v2
	v_cndmask_b32_e32 v2, v32, v6, vcc
	v_mul_f32_e32 v2, v10, v2
	v_min_f32_e32 v2, 0x43e00000, v2
	v_max_f32_e32 v6, 0xc3e00000, v2
	v_and_b32_sdwa v2, v6, s35 dst_sel:DWORD dst_unused:UNUSED_PAD src0_sel:BYTE_3 src1_sel:DWORD
	v_and_b32_e32 v22, 0x7f800000, v6
	v_mov_b32_e32 v23, v17
	v_and_b32_e32 v16, 0x7fffff, v6
	v_or_b32_e32 v20, 0x7e, v2
	v_cmp_ne_u64_e32 vcc, s[12:13], v[22:23]
	s_and_saveexec_b64 s[0:1], vcc
	s_xor_b64 s[16:17], exec, s[0:1]
	s_cbranch_execz .LBB4_35
; %bb.22:                               ;   in Loop: Header=BB4_5 Depth=1
	v_and_b32_e32 v22, 0x7fffffff, v6
	v_mov_b32_e32 v23, v17
	v_cmp_gt_u64_e32 vcc, s[14:15], v[22:23]
	s_and_saveexec_b64 s[0:1], vcc
	s_xor_b64 s[18:19], exec, s[0:1]
	s_cbranch_execz .LBB4_34
; %bb.23:                               ;   in Loop: Header=BB4_5 Depth=1
	v_cmp_ne_u32_e32 vcc, 0, v6
	v_pk_mov_b32 v[20:21], 0, 0
	s_and_saveexec_b64 s[20:21], vcc
	s_cbranch_execz .LBB4_33
; %bb.24:                               ;   in Loop: Header=BB4_5 Depth=1
	v_bfe_u32 v6, v6, 23, 8
	v_sub_u32_e64 v19, s36, v6 clamp
	v_cmp_eq_u32_e32 vcc, 0, v6
	v_add_u32_e32 v24, 0xffffff88, v6
	v_cndmask_b32_e32 v6, v19, v34, vcc
	v_or_b32_e32 v20, 0x800000, v16
	v_add_u32_e32 v19, 20, v6
	v_cndmask_b32_e32 v16, v20, v16, vcc
	v_lshlrev_b64 v[20:21], v19, -1
	v_not_b32_e32 v19, v21
	v_not_b32_e32 v20, v20
	v_and_b32_e32 v21, 0, v19
	v_add_u32_e32 v19, 19, v6
	v_and_b32_e32 v20, v16, v20
	v_lshlrev_b64 v[22:23], v19, 1
	v_cmp_eq_u64_e64 s[0:1], v[20:21], v[22:23]
	v_lshrrev_b64 v[20:21], v6, v[16:17]
	v_cndmask_b32_e32 v16, v24, v35, vcc
	v_lshrrev_b32_e32 v19, 23, v20
	v_add3_u32 v19, v16, v6, v19
	v_and_b32_e32 v16, 0x100000, v20
	v_cmp_eq_u64_e32 vcc, 0, v[16:17]
	s_and_b64 vcc, vcc, s[0:1]
	v_subbrev_co_u32_e32 v6, vcc, 0, v20, vcc
	v_and_b32_e32 v6, 0xfffff, v6
	v_add_co_u32_e32 v20, vcc, v6, v20
	v_add_u32_e32 v22, -1, v19
	v_addc_co_u32_e32 v21, vcc, 0, v21, vcc
	v_cmp_ne_u32_e32 vcc, 0, v22
                                        ; implicit-def: $vgpr6
	s_and_saveexec_b64 s[0:1], vcc
	s_xor_b64 s[0:1], exec, s[0:1]
; %bb.25:                               ;   in Loop: Header=BB4_5 Depth=1
	v_and_b32_e32 v16, 0x1000000, v20
	v_cmp_eq_u64_e32 vcc, 0, v[16:17]
	v_bfe_u32 v16, v20, 24, 1
	v_cndmask_b32_e32 v6, v19, v22, vcc
	v_lshrrev_b64 v[20:21], v16, v[20:21]
; %bb.26:                               ;   in Loop: Header=BB4_5 Depth=1
	s_andn2_saveexec_b64 s[0:1], s[0:1]
; %bb.27:                               ;   in Loop: Header=BB4_5 Depth=1
	v_bfe_u32 v6, v20, 23, 1
; %bb.28:                               ;   in Loop: Header=BB4_5 Depth=1
	s_or_b64 exec, exec, s[0:1]
	v_lshrrev_b64 v[20:21], 20, v[20:21]
	v_cmp_gt_i32_e32 vcc, 16, v6
	v_cndmask_b32_e32 v23, 0, v21, vcc
	v_cndmask_b32_e32 v22, 7, v20, vcc
	v_cmp_ne_u32_e32 vcc, 0, v6
	v_cmp_ne_u64_e64 s[0:1], 0, v[22:23]
	s_or_b64 s[0:1], vcc, s[0:1]
                                        ; implicit-def: $vgpr20_vgpr21
	s_and_saveexec_b64 s[40:41], s[0:1]
	s_xor_b64 s[0:1], exec, s[40:41]
; %bb.29:                               ;   in Loop: Header=BB4_5 Depth=1
	v_min_i32_e32 v6, 15, v6
	v_lshl_or_b32 v2, v6, 3, v2
	v_and_or_b32 v20, v22, 7, v2
                                        ; implicit-def: $vgpr2
; %bb.30:                               ;   in Loop: Header=BB4_5 Depth=1
	s_andn2_saveexec_b64 s[0:1], s[0:1]
; %bb.31:                               ;   in Loop: Header=BB4_5 Depth=1
	v_pk_mov_b32 v[20:21], v[2:3], v[2:3] op_sel:[0,1]
; %bb.32:                               ;   in Loop: Header=BB4_5 Depth=1
	s_or_b64 exec, exec, s[0:1]
.LBB4_33:                               ;   in Loop: Header=BB4_5 Depth=1
	s_or_b64 exec, exec, s[20:21]
.LBB4_34:                               ;   in Loop: Header=BB4_5 Depth=1
	s_andn2_saveexec_b64 s[0:1], s[18:19]
	s_or_b64 exec, exec, s[0:1]
                                        ; implicit-def: $vgpr6
.LBB4_35:                               ;   in Loop: Header=BB4_5 Depth=1
	s_andn2_saveexec_b64 s[0:1], s[16:17]
; %bb.36:                               ;   in Loop: Header=BB4_5 Depth=1
	v_or_b32_sdwa v2, v6, s37 dst_sel:DWORD dst_unused:UNUSED_PAD src0_sel:BYTE_3 src1_sel:DWORD
	v_cmp_eq_u64_e32 vcc, 0, v[16:17]
	v_cndmask_b32_e32 v20, v2, v20, vcc
; %bb.37:                               ;   in Loop: Header=BB4_5 Depth=1
	s_or_b64 exec, exec, s[0:1]
	v_lshlrev_b32_e32 v2, 16, v7
	v_xor_b32_e32 v6, 0x80000000, v2
	v_bfe_u32 v16, v6, 16, 1
	v_add3_u32 v6, v6, v16, s9
	v_and_b32_e32 v6, 0xffff0000, v6
	v_cmp_o_f32_e32 vcc, v2, v2
	v_cndmask_b32_e32 v6, v32, v6, vcc
	v_mul_f32_e32 v16, 0x3fb8aa3b, v6
	v_fma_f32 v19, v6, s31, -v16
	v_rndne_f32_e32 v21, v16
	v_fmac_f32_e32 v19, 0x32a5705f, v6
	v_sub_f32_e32 v16, v16, v21
	v_add_f32_e32 v16, v16, v19
	v_exp_f32_e32 v16, v16
	v_cvt_i32_f32_e32 v19, v21
	v_cmp_ngt_f32_e32 vcc, s33, v6
	v_mov_b32_e32 v25, v17
	v_ldexp_f32 v16, v16, v19
	v_cndmask_b32_e32 v16, 0, v16, vcc
	v_cmp_nlt_f32_e32 vcc, s34, v6
	v_cndmask_b32_e32 v6, v33, v16, vcc
	v_add_f32_e32 v6, 1.0, v6
	v_div_scale_f32 v16, s[0:1], v6, v6, v2
	v_rcp_f32_e32 v19, v16
	v_fma_f32 v21, -v16, v19, 1.0
	v_fmac_f32_e32 v19, v21, v19
	v_div_scale_f32 v21, vcc, v2, v6, v2
	v_mul_f32_e32 v22, v21, v19
	v_fma_f32 v23, -v16, v22, v21
	v_fmac_f32_e32 v22, v23, v19
	v_fma_f32 v16, -v16, v22, v21
	v_div_fmas_f32 v16, v16, v19, v22
	v_div_fixup_f32 v2, v16, v6, v2
	v_bfe_u32 v6, v2, 16, 1
	v_add3_u32 v6, v2, v6, s9
	v_and_b32_e32 v6, 0xffff0000, v6
	v_cmp_o_f32_e32 vcc, v2, v2
	v_cndmask_b32_e32 v2, v32, v6, vcc
	v_lshlrev_b32_e32 v6, 16, v3
	v_mul_f32_e32 v2, v2, v6
	v_bfe_u32 v6, v2, 16, 1
	v_add3_u32 v6, v2, v6, s9
	v_and_b32_e32 v6, 0xffff0000, v6
	v_cmp_o_f32_e32 vcc, v2, v2
	v_cndmask_b32_e32 v2, v32, v6, vcc
	v_mul_f32_e32 v2, v10, v2
	v_min_f32_e32 v2, 0x43e00000, v2
	v_max_f32_e32 v6, 0xc3e00000, v2
	v_and_b32_sdwa v2, v6, s35 dst_sel:DWORD dst_unused:UNUSED_PAD src0_sel:BYTE_3 src1_sel:DWORD
	v_and_b32_e32 v24, 0x7f800000, v6
	v_and_b32_e32 v16, 0x7fffff, v6
	v_or_b32_e32 v22, 0x7e, v2
	v_cmp_ne_u64_e32 vcc, s[12:13], v[24:25]
	s_and_saveexec_b64 s[0:1], vcc
	s_xor_b64 s[16:17], exec, s[0:1]
	s_cbranch_execz .LBB4_51
; %bb.38:                               ;   in Loop: Header=BB4_5 Depth=1
	v_and_b32_e32 v24, 0x7fffffff, v6
	v_mov_b32_e32 v25, v17
	v_cmp_gt_u64_e32 vcc, s[14:15], v[24:25]
	s_and_saveexec_b64 s[0:1], vcc
	s_xor_b64 s[18:19], exec, s[0:1]
	s_cbranch_execz .LBB4_50
; %bb.39:                               ;   in Loop: Header=BB4_5 Depth=1
	v_cmp_ne_u32_e32 vcc, 0, v6
	v_pk_mov_b32 v[22:23], 0, 0
	s_and_saveexec_b64 s[20:21], vcc
	s_cbranch_execz .LBB4_49
; %bb.40:                               ;   in Loop: Header=BB4_5 Depth=1
	v_bfe_u32 v6, v6, 23, 8
	v_sub_u32_e64 v19, s36, v6 clamp
	v_cmp_eq_u32_e32 vcc, 0, v6
	v_add_u32_e32 v26, 0xffffff88, v6
	v_cndmask_b32_e32 v6, v19, v34, vcc
	v_add_u32_e32 v19, 20, v6
	v_lshlrev_b64 v[22:23], v19, -1
	v_or_b32_e32 v21, 0x800000, v16
	v_not_b32_e32 v19, v23
	v_cndmask_b32_e32 v16, v21, v16, vcc
	v_not_b32_e32 v21, v22
	v_and_b32_e32 v23, 0, v19
	v_add_u32_e32 v19, 19, v6
	v_and_b32_e32 v22, v16, v21
	v_lshlrev_b64 v[24:25], v19, 1
	v_cmp_eq_u64_e64 s[0:1], v[22:23], v[24:25]
	v_lshrrev_b64 v[22:23], v6, v[16:17]
	v_cndmask_b32_e32 v16, v26, v35, vcc
	v_lshrrev_b32_e32 v19, 23, v22
	v_add3_u32 v19, v16, v6, v19
	v_and_b32_e32 v16, 0x100000, v22
	v_cmp_eq_u64_e32 vcc, 0, v[16:17]
	s_and_b64 vcc, vcc, s[0:1]
	v_subbrev_co_u32_e32 v6, vcc, 0, v22, vcc
	v_and_b32_e32 v6, 0xfffff, v6
	v_add_co_u32_e32 v22, vcc, v6, v22
	v_add_u32_e32 v21, -1, v19
	v_addc_co_u32_e32 v23, vcc, 0, v23, vcc
	v_cmp_ne_u32_e32 vcc, 0, v21
                                        ; implicit-def: $vgpr6
	s_and_saveexec_b64 s[0:1], vcc
	s_xor_b64 s[0:1], exec, s[0:1]
; %bb.41:                               ;   in Loop: Header=BB4_5 Depth=1
	v_and_b32_e32 v16, 0x1000000, v22
	v_cmp_eq_u64_e32 vcc, 0, v[16:17]
	v_bfe_u32 v16, v22, 24, 1
	v_cndmask_b32_e32 v6, v19, v21, vcc
	v_lshrrev_b64 v[22:23], v16, v[22:23]
; %bb.42:                               ;   in Loop: Header=BB4_5 Depth=1
	s_andn2_saveexec_b64 s[0:1], s[0:1]
; %bb.43:                               ;   in Loop: Header=BB4_5 Depth=1
	v_bfe_u32 v6, v22, 23, 1
; %bb.44:                               ;   in Loop: Header=BB4_5 Depth=1
	s_or_b64 exec, exec, s[0:1]
	v_lshrrev_b64 v[22:23], 20, v[22:23]
	v_cmp_gt_i32_e32 vcc, 16, v6
	v_cndmask_b32_e32 v25, 0, v23, vcc
	v_cndmask_b32_e32 v24, 7, v22, vcc
	v_cmp_ne_u32_e32 vcc, 0, v6
	v_cmp_ne_u64_e64 s[0:1], 0, v[24:25]
	s_or_b64 s[0:1], vcc, s[0:1]
                                        ; implicit-def: $vgpr22_vgpr23
	s_and_saveexec_b64 s[40:41], s[0:1]
	s_xor_b64 s[0:1], exec, s[40:41]
; %bb.45:                               ;   in Loop: Header=BB4_5 Depth=1
	v_min_i32_e32 v6, 15, v6
	v_lshl_or_b32 v2, v6, 3, v2
	v_and_or_b32 v22, v24, 7, v2
                                        ; implicit-def: $vgpr2
; %bb.46:                               ;   in Loop: Header=BB4_5 Depth=1
	s_andn2_saveexec_b64 s[0:1], s[0:1]
; %bb.47:                               ;   in Loop: Header=BB4_5 Depth=1
	v_pk_mov_b32 v[22:23], v[2:3], v[2:3] op_sel:[0,1]
; %bb.48:                               ;   in Loop: Header=BB4_5 Depth=1
	s_or_b64 exec, exec, s[0:1]
.LBB4_49:                               ;   in Loop: Header=BB4_5 Depth=1
	s_or_b64 exec, exec, s[20:21]
.LBB4_50:                               ;   in Loop: Header=BB4_5 Depth=1
	s_andn2_saveexec_b64 s[0:1], s[18:19]
	s_or_b64 exec, exec, s[0:1]
                                        ; implicit-def: $vgpr6
.LBB4_51:                               ;   in Loop: Header=BB4_5 Depth=1
	s_andn2_saveexec_b64 s[0:1], s[16:17]
; %bb.52:                               ;   in Loop: Header=BB4_5 Depth=1
	v_or_b32_sdwa v2, v6, s37 dst_sel:DWORD dst_unused:UNUSED_PAD src0_sel:BYTE_3 src1_sel:DWORD
	v_cmp_eq_u64_e32 vcc, 0, v[16:17]
	v_cndmask_b32_e32 v22, v2, v22, vcc
; %bb.53:                               ;   in Loop: Header=BB4_5 Depth=1
	s_or_b64 exec, exec, s[0:1]
	v_and_b32_e32 v2, 0xffff0000, v7
	v_xor_b32_e32 v6, 0x80000000, v2
	v_bfe_u32 v7, v6, 16, 1
	v_add3_u32 v6, v6, v7, s9
	v_and_b32_e32 v6, 0xffff0000, v6
	v_cmp_o_f32_e32 vcc, v2, v2
	v_cndmask_b32_e32 v6, v32, v6, vcc
	v_mul_f32_e32 v7, 0x3fb8aa3b, v6
	v_fma_f32 v16, v6, s31, -v7
	v_rndne_f32_e32 v19, v7
	v_fmac_f32_e32 v16, 0x32a5705f, v6
	v_sub_f32_e32 v7, v7, v19
	v_add_f32_e32 v7, v7, v16
	v_exp_f32_e32 v7, v7
	v_cvt_i32_f32_e32 v16, v19
	v_cmp_ngt_f32_e32 vcc, s33, v6
	v_and_b32_e32 v3, 0xffff0000, v3
	v_mov_b32_e32 v25, v17
	v_ldexp_f32 v7, v7, v16
	v_cndmask_b32_e32 v7, 0, v7, vcc
	v_cmp_nlt_f32_e32 vcc, s34, v6
	v_cndmask_b32_e32 v6, v33, v7, vcc
	v_add_f32_e32 v6, 1.0, v6
	v_div_scale_f32 v7, s[0:1], v6, v6, v2
	v_rcp_f32_e32 v16, v7
	v_fma_f32 v19, -v7, v16, 1.0
	v_fmac_f32_e32 v16, v19, v16
	v_div_scale_f32 v19, vcc, v2, v6, v2
	v_mul_f32_e32 v21, v19, v16
	v_fma_f32 v23, -v7, v21, v19
	v_fmac_f32_e32 v21, v23, v16
	v_fma_f32 v7, -v7, v21, v19
	v_div_fmas_f32 v7, v7, v16, v21
	v_div_fixup_f32 v2, v7, v6, v2
	v_bfe_u32 v6, v2, 16, 1
	v_add3_u32 v6, v2, v6, s9
	v_and_b32_e32 v6, 0xffff0000, v6
	v_cmp_o_f32_e32 vcc, v2, v2
	v_cndmask_b32_e32 v2, v32, v6, vcc
	v_mul_f32_e32 v2, v2, v3
	v_bfe_u32 v3, v2, 16, 1
	v_add3_u32 v3, v2, v3, s9
	v_and_b32_e32 v3, 0xffff0000, v3
	v_cmp_o_f32_e32 vcc, v2, v2
	v_cndmask_b32_e32 v2, v32, v3, vcc
	v_mul_f32_e32 v2, v10, v2
	v_min_f32_e32 v2, 0x43e00000, v2
	v_max_f32_e32 v7, 0xc3e00000, v2
	v_and_b32_sdwa v6, v7, s35 dst_sel:DWORD dst_unused:UNUSED_PAD src0_sel:BYTE_3 src1_sel:DWORD
	v_and_b32_e32 v24, 0x7f800000, v7
	v_and_b32_e32 v16, 0x7fffff, v7
	v_or_b32_e32 v2, 0x7e, v6
	v_cmp_ne_u64_e32 vcc, s[12:13], v[24:25]
	s_and_saveexec_b64 s[0:1], vcc
	s_xor_b64 s[16:17], exec, s[0:1]
	s_cbranch_execz .LBB4_67
; %bb.54:                               ;   in Loop: Header=BB4_5 Depth=1
	v_and_b32_e32 v24, 0x7fffffff, v7
	v_mov_b32_e32 v25, v17
	v_cmp_gt_u64_e32 vcc, s[14:15], v[24:25]
	s_and_saveexec_b64 s[0:1], vcc
	s_xor_b64 s[18:19], exec, s[0:1]
	s_cbranch_execz .LBB4_66
; %bb.55:                               ;   in Loop: Header=BB4_5 Depth=1
	v_cmp_ne_u32_e32 vcc, 0, v7
	v_pk_mov_b32 v[2:3], 0, 0
	s_and_saveexec_b64 s[20:21], vcc
	s_cbranch_execz .LBB4_65
; %bb.56:                               ;   in Loop: Header=BB4_5 Depth=1
	v_bfe_u32 v2, v7, 23, 8
	v_sub_u32_e64 v3, s36, v2 clamp
	v_cmp_eq_u32_e32 vcc, 0, v2
	v_cndmask_b32_e32 v21, v3, v34, vcc
	v_add_u32_e32 v19, 0xffffff88, v2
	v_add_u32_e32 v2, 20, v21
	v_or_b32_e32 v7, 0x800000, v16
	v_lshlrev_b64 v[2:3], v2, -1
	v_cndmask_b32_e32 v16, v7, v16, vcc
	v_not_b32_e32 v3, v3
	v_not_b32_e32 v2, v2
	v_add_u32_e32 v7, 19, v21
	v_and_b32_e32 v3, 0, v3
	v_and_b32_e32 v2, v16, v2
	v_lshlrev_b64 v[24:25], v7, 1
	v_cmp_eq_u64_e64 s[0:1], v[2:3], v[24:25]
	v_lshrrev_b64 v[2:3], v21, v[16:17]
	v_cndmask_b32_e32 v7, v19, v35, vcc
	v_lshrrev_b32_e32 v16, 23, v2
	v_add3_u32 v19, v7, v21, v16
	v_and_b32_e32 v16, 0x100000, v2
	v_cmp_eq_u64_e32 vcc, 0, v[16:17]
	s_and_b64 vcc, vcc, s[0:1]
	v_subbrev_co_u32_e32 v7, vcc, 0, v2, vcc
	v_and_b32_e32 v7, 0xfffff, v7
	v_add_co_u32_e32 v2, vcc, v7, v2
	v_add_u32_e32 v21, -1, v19
	v_addc_co_u32_e32 v3, vcc, 0, v3, vcc
	v_cmp_ne_u32_e32 vcc, 0, v21
                                        ; implicit-def: $vgpr7
	s_and_saveexec_b64 s[0:1], vcc
	s_xor_b64 s[0:1], exec, s[0:1]
; %bb.57:                               ;   in Loop: Header=BB4_5 Depth=1
	v_and_b32_e32 v16, 0x1000000, v2
	v_cmp_eq_u64_e32 vcc, 0, v[16:17]
	v_bfe_u32 v16, v2, 24, 1
	v_cndmask_b32_e32 v7, v19, v21, vcc
	v_lshrrev_b64 v[2:3], v16, v[2:3]
; %bb.58:                               ;   in Loop: Header=BB4_5 Depth=1
	s_andn2_saveexec_b64 s[0:1], s[0:1]
; %bb.59:                               ;   in Loop: Header=BB4_5 Depth=1
	v_bfe_u32 v7, v2, 23, 1
; %bb.60:                               ;   in Loop: Header=BB4_5 Depth=1
	s_or_b64 exec, exec, s[0:1]
	v_lshrrev_b64 v[2:3], 20, v[2:3]
	v_cmp_gt_i32_e32 vcc, 16, v7
	v_cndmask_b32_e32 v25, 0, v3, vcc
	v_cndmask_b32_e32 v24, 7, v2, vcc
	v_cmp_ne_u32_e32 vcc, 0, v7
	v_cmp_ne_u64_e64 s[0:1], 0, v[24:25]
	s_or_b64 s[0:1], vcc, s[0:1]
                                        ; implicit-def: $vgpr2_vgpr3
	s_and_saveexec_b64 s[40:41], s[0:1]
	s_xor_b64 s[0:1], exec, s[40:41]
; %bb.61:                               ;   in Loop: Header=BB4_5 Depth=1
	v_min_i32_e32 v2, 15, v7
	v_lshl_or_b32 v2, v2, 3, v6
	v_and_or_b32 v2, v24, 7, v2
                                        ; implicit-def: $vgpr6
; %bb.62:                               ;   in Loop: Header=BB4_5 Depth=1
	s_andn2_saveexec_b64 s[0:1], s[0:1]
; %bb.63:                               ;   in Loop: Header=BB4_5 Depth=1
	v_pk_mov_b32 v[2:3], v[6:7], v[6:7] op_sel:[0,1]
; %bb.64:                               ;   in Loop: Header=BB4_5 Depth=1
	s_or_b64 exec, exec, s[0:1]
.LBB4_65:                               ;   in Loop: Header=BB4_5 Depth=1
	s_or_b64 exec, exec, s[20:21]
.LBB4_66:                               ;   in Loop: Header=BB4_5 Depth=1
	s_andn2_saveexec_b64 s[0:1], s[18:19]
	s_or_b64 exec, exec, s[0:1]
                                        ; implicit-def: $vgpr7
.LBB4_67:                               ;   in Loop: Header=BB4_5 Depth=1
	s_andn2_saveexec_b64 s[0:1], s[16:17]
; %bb.68:                               ;   in Loop: Header=BB4_5 Depth=1
	v_or_b32_sdwa v3, v7, s37 dst_sel:DWORD dst_unused:UNUSED_PAD src0_sel:BYTE_3 src1_sel:DWORD
	v_cmp_eq_u64_e32 vcc, 0, v[16:17]
	v_cndmask_b32_e32 v2, v3, v2, vcc
; %bb.69:                               ;   in Loop: Header=BB4_5 Depth=1
	s_or_b64 exec, exec, s[0:1]
	v_lshlrev_b32_e32 v3, 16, v8
	v_xor_b32_e32 v6, 0x80000000, v3
	v_bfe_u32 v7, v6, 16, 1
	v_add3_u32 v6, v6, v7, s9
	v_and_b32_e32 v6, 0xffff0000, v6
	v_cmp_o_f32_e32 vcc, v3, v3
	v_cndmask_b32_e32 v6, v32, v6, vcc
	v_mul_f32_e32 v7, 0x3fb8aa3b, v6
	v_fma_f32 v16, v6, s31, -v7
	v_rndne_f32_e32 v19, v7
	v_fmac_f32_e32 v16, 0x32a5705f, v6
	v_sub_f32_e32 v7, v7, v19
	v_add_f32_e32 v7, v7, v16
	v_exp_f32_e32 v7, v7
	v_cvt_i32_f32_e32 v16, v19
	v_cmp_ngt_f32_e32 vcc, s33, v6
	v_mov_b32_e32 v27, v17
	v_ldexp_f32 v7, v7, v16
	v_cndmask_b32_e32 v7, 0, v7, vcc
	v_cmp_nlt_f32_e32 vcc, s34, v6
	v_cndmask_b32_e32 v6, v33, v7, vcc
	v_add_f32_e32 v6, 1.0, v6
	v_div_scale_f32 v7, s[0:1], v6, v6, v3
	v_rcp_f32_e32 v16, v7
	v_fma_f32 v19, -v7, v16, 1.0
	v_fmac_f32_e32 v16, v19, v16
	v_div_scale_f32 v19, vcc, v3, v6, v3
	v_mul_f32_e32 v21, v19, v16
	v_fma_f32 v23, -v7, v21, v19
	v_fmac_f32_e32 v21, v23, v16
	v_fma_f32 v7, -v7, v21, v19
	v_div_fmas_f32 v7, v7, v16, v21
	v_div_fixup_f32 v3, v7, v6, v3
	v_bfe_u32 v6, v3, 16, 1
	v_add3_u32 v6, v3, v6, s9
	v_and_b32_e32 v6, 0xffff0000, v6
	v_cmp_o_f32_e32 vcc, v3, v3
	v_cndmask_b32_e32 v3, v32, v6, vcc
	v_lshlrev_b32_e32 v6, 16, v4
	v_mul_f32_e32 v3, v3, v6
	v_bfe_u32 v6, v3, 16, 1
	v_add3_u32 v6, v3, v6, s9
	v_and_b32_e32 v6, 0xffff0000, v6
	v_cmp_o_f32_e32 vcc, v3, v3
	v_cndmask_b32_e32 v3, v32, v6, vcc
	v_mul_f32_e32 v3, v10, v3
	v_min_f32_e32 v3, 0x43e00000, v3
	v_max_f32_e32 v3, 0xc3e00000, v3
	v_and_b32_sdwa v24, v3, s35 dst_sel:DWORD dst_unused:UNUSED_PAD src0_sel:BYTE_3 src1_sel:DWORD
	v_and_b32_e32 v26, 0x7f800000, v3
	v_and_b32_e32 v16, 0x7fffff, v3
	v_or_b32_e32 v6, 0x7e, v24
	v_cmp_ne_u64_e32 vcc, s[12:13], v[26:27]
	s_and_saveexec_b64 s[0:1], vcc
	s_xor_b64 s[16:17], exec, s[0:1]
	s_cbranch_execz .LBB4_83
; %bb.70:                               ;   in Loop: Header=BB4_5 Depth=1
	v_and_b32_e32 v26, 0x7fffffff, v3
	v_mov_b32_e32 v27, v17
	v_cmp_gt_u64_e32 vcc, s[14:15], v[26:27]
	s_and_saveexec_b64 s[0:1], vcc
	s_xor_b64 s[18:19], exec, s[0:1]
	s_cbranch_execz .LBB4_82
; %bb.71:                               ;   in Loop: Header=BB4_5 Depth=1
	v_cmp_ne_u32_e32 vcc, 0, v3
	v_pk_mov_b32 v[6:7], 0, 0
	s_and_saveexec_b64 s[20:21], vcc
	s_cbranch_execz .LBB4_81
; %bb.72:                               ;   in Loop: Header=BB4_5 Depth=1
	v_bfe_u32 v3, v3, 23, 8
	v_sub_u32_e64 v6, s36, v3 clamp
	v_cmp_eq_u32_e32 vcc, 0, v3
	v_add_u32_e32 v19, 0xffffff88, v3
	v_cndmask_b32_e32 v3, v6, v34, vcc
	v_or_b32_e32 v7, 0x800000, v16
	v_add_u32_e32 v6, 20, v3
	v_cndmask_b32_e32 v16, v7, v16, vcc
	v_lshlrev_b64 v[6:7], v6, -1
	v_not_b32_e32 v7, v7
	v_not_b32_e32 v6, v6
	v_add_u32_e32 v21, 19, v3
	v_and_b32_e32 v7, 0, v7
	v_and_b32_e32 v6, v16, v6
	v_lshlrev_b64 v[26:27], v21, 1
	v_cmp_eq_u64_e64 s[0:1], v[6:7], v[26:27]
	v_lshrrev_b64 v[6:7], v3, v[16:17]
	v_cndmask_b32_e32 v16, v19, v35, vcc
	v_lshrrev_b32_e32 v19, 23, v6
	v_add3_u32 v19, v16, v3, v19
	v_and_b32_e32 v16, 0x100000, v6
	v_cmp_eq_u64_e32 vcc, 0, v[16:17]
	s_and_b64 vcc, vcc, s[0:1]
	v_subbrev_co_u32_e32 v3, vcc, 0, v6, vcc
	v_and_b32_e32 v3, 0xfffff, v3
	v_add_co_u32_e32 v6, vcc, v3, v6
	v_add_u32_e32 v21, -1, v19
	v_addc_co_u32_e32 v7, vcc, 0, v7, vcc
	v_cmp_ne_u32_e32 vcc, 0, v21
                                        ; implicit-def: $vgpr3
	s_and_saveexec_b64 s[0:1], vcc
	s_xor_b64 s[0:1], exec, s[0:1]
; %bb.73:                               ;   in Loop: Header=BB4_5 Depth=1
	v_and_b32_e32 v16, 0x1000000, v6
	v_cmp_eq_u64_e32 vcc, 0, v[16:17]
	v_bfe_u32 v16, v6, 24, 1
	v_cndmask_b32_e32 v3, v19, v21, vcc
	v_lshrrev_b64 v[6:7], v16, v[6:7]
; %bb.74:                               ;   in Loop: Header=BB4_5 Depth=1
	s_andn2_saveexec_b64 s[0:1], s[0:1]
; %bb.75:                               ;   in Loop: Header=BB4_5 Depth=1
	v_bfe_u32 v3, v6, 23, 1
; %bb.76:                               ;   in Loop: Header=BB4_5 Depth=1
	s_or_b64 exec, exec, s[0:1]
	v_lshrrev_b64 v[6:7], 20, v[6:7]
	v_cmp_gt_i32_e32 vcc, 16, v3
	v_cndmask_b32_e32 v27, 0, v7, vcc
	v_cndmask_b32_e32 v26, 7, v6, vcc
	v_cmp_ne_u32_e32 vcc, 0, v3
	v_cmp_ne_u64_e64 s[0:1], 0, v[26:27]
	s_or_b64 s[0:1], vcc, s[0:1]
                                        ; implicit-def: $vgpr6_vgpr7
	s_and_saveexec_b64 s[40:41], s[0:1]
	s_xor_b64 s[0:1], exec, s[40:41]
; %bb.77:                               ;   in Loop: Header=BB4_5 Depth=1
	v_min_i32_e32 v3, 15, v3
	v_lshl_or_b32 v3, v3, 3, v24
	v_and_or_b32 v6, v26, 7, v3
                                        ; implicit-def: $vgpr24
; %bb.78:                               ;   in Loop: Header=BB4_5 Depth=1
	s_andn2_saveexec_b64 s[0:1], s[0:1]
; %bb.79:                               ;   in Loop: Header=BB4_5 Depth=1
	v_pk_mov_b32 v[6:7], v[24:25], v[24:25] op_sel:[0,1]
; %bb.80:                               ;   in Loop: Header=BB4_5 Depth=1
	s_or_b64 exec, exec, s[0:1]
.LBB4_81:                               ;   in Loop: Header=BB4_5 Depth=1
	s_or_b64 exec, exec, s[20:21]
.LBB4_82:                               ;   in Loop: Header=BB4_5 Depth=1
	s_andn2_saveexec_b64 s[0:1], s[18:19]
	s_or_b64 exec, exec, s[0:1]
                                        ; implicit-def: $vgpr3
.LBB4_83:                               ;   in Loop: Header=BB4_5 Depth=1
	s_andn2_saveexec_b64 s[0:1], s[16:17]
; %bb.84:                               ;   in Loop: Header=BB4_5 Depth=1
	v_or_b32_sdwa v3, v3, s37 dst_sel:DWORD dst_unused:UNUSED_PAD src0_sel:BYTE_3 src1_sel:DWORD
	v_cmp_eq_u64_e32 vcc, 0, v[16:17]
	v_cndmask_b32_e32 v6, v3, v6, vcc
; %bb.85:                               ;   in Loop: Header=BB4_5 Depth=1
	s_or_b64 exec, exec, s[0:1]
	v_and_b32_e32 v3, 0xffff0000, v8
	v_xor_b32_e32 v7, 0x80000000, v3
	v_bfe_u32 v8, v7, 16, 1
	v_add3_u32 v7, v7, v8, s9
	v_and_b32_e32 v7, 0xffff0000, v7
	v_cmp_o_f32_e32 vcc, v3, v3
	v_cndmask_b32_e32 v7, v32, v7, vcc
	v_mul_f32_e32 v8, 0x3fb8aa3b, v7
	v_fma_f32 v16, v7, s31, -v8
	v_rndne_f32_e32 v19, v8
	v_fmac_f32_e32 v16, 0x32a5705f, v7
	v_sub_f32_e32 v8, v8, v19
	v_add_f32_e32 v8, v8, v16
	v_exp_f32_e32 v8, v8
	v_cvt_i32_f32_e32 v16, v19
	v_cmp_ngt_f32_e32 vcc, s33, v7
	v_and_b32_e32 v4, 0xffff0000, v4
	v_mov_b32_e32 v27, v17
	v_ldexp_f32 v8, v8, v16
	v_cndmask_b32_e32 v8, 0, v8, vcc
	v_cmp_nlt_f32_e32 vcc, s34, v7
	v_cndmask_b32_e32 v7, v33, v8, vcc
	v_add_f32_e32 v7, 1.0, v7
	v_div_scale_f32 v8, s[0:1], v7, v7, v3
	v_rcp_f32_e32 v16, v8
	v_fma_f32 v19, -v8, v16, 1.0
	v_fmac_f32_e32 v16, v19, v16
	v_div_scale_f32 v19, vcc, v3, v7, v3
	v_mul_f32_e32 v21, v19, v16
	v_fma_f32 v23, -v8, v21, v19
	v_fmac_f32_e32 v21, v23, v16
	v_fma_f32 v8, -v8, v21, v19
	v_div_fmas_f32 v8, v8, v16, v21
	v_div_fixup_f32 v3, v8, v7, v3
	v_bfe_u32 v7, v3, 16, 1
	v_add3_u32 v7, v3, v7, s9
	v_and_b32_e32 v7, 0xffff0000, v7
	v_cmp_o_f32_e32 vcc, v3, v3
	v_cndmask_b32_e32 v3, v32, v7, vcc
	v_mul_f32_e32 v3, v3, v4
	v_bfe_u32 v4, v3, 16, 1
	v_add3_u32 v4, v3, v4, s9
	v_and_b32_e32 v4, 0xffff0000, v4
	v_cmp_o_f32_e32 vcc, v3, v3
	v_cndmask_b32_e32 v3, v32, v4, vcc
	v_mul_f32_e32 v3, v10, v3
	v_min_f32_e32 v3, 0x43e00000, v3
	v_max_f32_e32 v3, 0xc3e00000, v3
	v_and_b32_sdwa v4, v3, s35 dst_sel:DWORD dst_unused:UNUSED_PAD src0_sel:BYTE_3 src1_sel:DWORD
	v_and_b32_e32 v26, 0x7f800000, v3
	v_and_b32_e32 v16, 0x7fffff, v3
	v_or_b32_e32 v24, 0x7e, v4
	v_cmp_ne_u64_e32 vcc, s[12:13], v[26:27]
	s_and_saveexec_b64 s[0:1], vcc
	s_xor_b64 s[16:17], exec, s[0:1]
	s_cbranch_execz .LBB4_99
; %bb.86:                               ;   in Loop: Header=BB4_5 Depth=1
	v_and_b32_e32 v26, 0x7fffffff, v3
	v_mov_b32_e32 v27, v17
	v_cmp_gt_u64_e32 vcc, s[14:15], v[26:27]
	s_and_saveexec_b64 s[0:1], vcc
	s_xor_b64 s[18:19], exec, s[0:1]
	s_cbranch_execz .LBB4_98
; %bb.87:                               ;   in Loop: Header=BB4_5 Depth=1
	v_cmp_ne_u32_e32 vcc, 0, v3
	v_pk_mov_b32 v[24:25], 0, 0
	s_and_saveexec_b64 s[20:21], vcc
	s_cbranch_execz .LBB4_97
; %bb.88:                               ;   in Loop: Header=BB4_5 Depth=1
	v_bfe_u32 v3, v3, 23, 8
	v_sub_u32_e64 v7, s36, v3 clamp
	v_cmp_eq_u32_e32 vcc, 0, v3
	v_add_u32_e32 v19, 0xffffff88, v3
	v_cndmask_b32_e32 v3, v7, v34, vcc
	v_add_u32_e32 v7, 20, v3
	v_lshlrev_b64 v[24:25], v7, -1
	v_or_b32_e32 v8, 0x800000, v16
	v_not_b32_e32 v7, v25
	v_cndmask_b32_e32 v16, v8, v16, vcc
	v_not_b32_e32 v8, v24
	v_and_b32_e32 v25, 0, v7
	v_add_u32_e32 v7, 19, v3
	v_and_b32_e32 v24, v16, v8
	v_lshlrev_b64 v[26:27], v7, 1
	v_cmp_eq_u64_e64 s[0:1], v[24:25], v[26:27]
	v_lshrrev_b64 v[24:25], v3, v[16:17]
	v_and_b32_e32 v16, 0x100000, v24
	v_cndmask_b32_e32 v7, v19, v35, vcc
	v_cmp_eq_u64_e32 vcc, 0, v[16:17]
	v_lshrrev_b32_e32 v8, 23, v24
	s_and_b64 vcc, vcc, s[0:1]
	v_add3_u32 v7, v7, v3, v8
	v_subbrev_co_u32_e32 v3, vcc, 0, v24, vcc
	v_and_b32_e32 v3, 0xfffff, v3
	v_add_co_u32_e32 v24, vcc, v3, v24
	v_add_u32_e32 v8, -1, v7
	v_addc_co_u32_e32 v25, vcc, 0, v25, vcc
	v_cmp_ne_u32_e32 vcc, 0, v8
                                        ; implicit-def: $vgpr3
	s_and_saveexec_b64 s[0:1], vcc
	s_xor_b64 s[0:1], exec, s[0:1]
; %bb.89:                               ;   in Loop: Header=BB4_5 Depth=1
	v_and_b32_e32 v16, 0x1000000, v24
	v_cmp_eq_u64_e32 vcc, 0, v[16:17]
	v_cndmask_b32_e32 v3, v7, v8, vcc
	v_bfe_u32 v7, v24, 24, 1
	v_lshrrev_b64 v[24:25], v7, v[24:25]
; %bb.90:                               ;   in Loop: Header=BB4_5 Depth=1
	s_andn2_saveexec_b64 s[0:1], s[0:1]
; %bb.91:                               ;   in Loop: Header=BB4_5 Depth=1
	v_bfe_u32 v3, v24, 23, 1
; %bb.92:                               ;   in Loop: Header=BB4_5 Depth=1
	s_or_b64 exec, exec, s[0:1]
	v_lshrrev_b64 v[24:25], 20, v[24:25]
	v_cmp_gt_i32_e32 vcc, 16, v3
	v_cndmask_b32_e32 v27, 0, v25, vcc
	v_cndmask_b32_e32 v26, 7, v24, vcc
	v_cmp_ne_u32_e32 vcc, 0, v3
	v_cmp_ne_u64_e64 s[0:1], 0, v[26:27]
	s_or_b64 s[0:1], vcc, s[0:1]
                                        ; implicit-def: $vgpr24_vgpr25
	s_and_saveexec_b64 s[40:41], s[0:1]
	s_xor_b64 s[0:1], exec, s[40:41]
; %bb.93:                               ;   in Loop: Header=BB4_5 Depth=1
	v_min_i32_e32 v3, 15, v3
	v_lshl_or_b32 v3, v3, 3, v4
	v_and_or_b32 v24, v26, 7, v3
                                        ; implicit-def: $vgpr4
; %bb.94:                               ;   in Loop: Header=BB4_5 Depth=1
	s_andn2_saveexec_b64 s[0:1], s[0:1]
; %bb.95:                               ;   in Loop: Header=BB4_5 Depth=1
	v_pk_mov_b32 v[24:25], v[4:5], v[4:5] op_sel:[0,1]
; %bb.96:                               ;   in Loop: Header=BB4_5 Depth=1
	s_or_b64 exec, exec, s[0:1]
.LBB4_97:                               ;   in Loop: Header=BB4_5 Depth=1
	s_or_b64 exec, exec, s[20:21]
.LBB4_98:                               ;   in Loop: Header=BB4_5 Depth=1
	s_andn2_saveexec_b64 s[0:1], s[18:19]
	s_or_b64 exec, exec, s[0:1]
                                        ; implicit-def: $vgpr3
.LBB4_99:                               ;   in Loop: Header=BB4_5 Depth=1
	s_andn2_saveexec_b64 s[0:1], s[16:17]
; %bb.100:                              ;   in Loop: Header=BB4_5 Depth=1
	v_or_b32_sdwa v3, v3, s37 dst_sel:DWORD dst_unused:UNUSED_PAD src0_sel:BYTE_3 src1_sel:DWORD
	v_cmp_eq_u64_e32 vcc, 0, v[16:17]
	v_cndmask_b32_e32 v24, v3, v24, vcc
; %bb.101:                              ;   in Loop: Header=BB4_5 Depth=1
	s_or_b64 exec, exec, s[0:1]
	v_lshlrev_b32_e32 v3, 16, v9
	v_xor_b32_e32 v4, 0x80000000, v3
	v_bfe_u32 v7, v4, 16, 1
	v_add3_u32 v4, v4, v7, s9
	v_and_b32_e32 v4, 0xffff0000, v4
	v_cmp_o_f32_e32 vcc, v3, v3
	v_cndmask_b32_e32 v4, v32, v4, vcc
	v_mul_f32_e32 v7, 0x3fb8aa3b, v4
	v_fma_f32 v8, v4, s31, -v7
	v_rndne_f32_e32 v16, v7
	v_fmac_f32_e32 v8, 0x32a5705f, v4
	v_sub_f32_e32 v7, v7, v16
	v_add_f32_e32 v7, v7, v8
	v_exp_f32_e32 v7, v7
	v_cvt_i32_f32_e32 v8, v16
	v_cmp_ngt_f32_e32 vcc, s33, v4
	v_mov_b32_e32 v29, v17
	v_ldexp_f32 v7, v7, v8
	v_cndmask_b32_e32 v7, 0, v7, vcc
	v_cmp_nlt_f32_e32 vcc, s34, v4
	v_cndmask_b32_e32 v4, v33, v7, vcc
	v_add_f32_e32 v4, 1.0, v4
	v_div_scale_f32 v7, s[0:1], v4, v4, v3
	v_rcp_f32_e32 v8, v7
	v_fma_f32 v16, -v7, v8, 1.0
	v_fmac_f32_e32 v8, v16, v8
	v_div_scale_f32 v16, vcc, v3, v4, v3
	v_mul_f32_e32 v19, v16, v8
	v_fma_f32 v21, -v7, v19, v16
	v_fmac_f32_e32 v19, v21, v8
	v_fma_f32 v7, -v7, v19, v16
	v_div_fmas_f32 v7, v7, v8, v19
	v_div_fixup_f32 v3, v7, v4, v3
	v_bfe_u32 v4, v3, 16, 1
	v_add3_u32 v4, v3, v4, s9
	v_and_b32_e32 v4, 0xffff0000, v4
	v_cmp_o_f32_e32 vcc, v3, v3
	v_cndmask_b32_e32 v3, v32, v4, vcc
	v_lshlrev_b32_e32 v4, 16, v5
	v_mul_f32_e32 v3, v3, v4
	v_bfe_u32 v4, v3, 16, 1
	v_add3_u32 v4, v3, v4, s9
	v_and_b32_e32 v4, 0xffff0000, v4
	v_cmp_o_f32_e32 vcc, v3, v3
	v_cndmask_b32_e32 v3, v32, v4, vcc
	v_mul_f32_e32 v3, v10, v3
	v_min_f32_e32 v3, 0x43e00000, v3
	v_max_f32_e32 v3, 0xc3e00000, v3
	v_and_b32_sdwa v4, v3, s35 dst_sel:DWORD dst_unused:UNUSED_PAD src0_sel:BYTE_3 src1_sel:DWORD
	v_and_b32_e32 v28, 0x7f800000, v3
	v_and_b32_e32 v16, 0x7fffff, v3
	v_or_b32_e32 v26, 0x7e, v4
	v_cmp_ne_u64_e32 vcc, s[12:13], v[28:29]
	s_and_saveexec_b64 s[0:1], vcc
	s_xor_b64 s[16:17], exec, s[0:1]
	s_cbranch_execz .LBB4_115
; %bb.102:                              ;   in Loop: Header=BB4_5 Depth=1
	v_and_b32_e32 v28, 0x7fffffff, v3
	v_mov_b32_e32 v29, v17
	v_cmp_gt_u64_e32 vcc, s[14:15], v[28:29]
	s_and_saveexec_b64 s[0:1], vcc
	s_xor_b64 s[18:19], exec, s[0:1]
	s_cbranch_execz .LBB4_114
; %bb.103:                              ;   in Loop: Header=BB4_5 Depth=1
	v_cmp_ne_u32_e32 vcc, 0, v3
	v_pk_mov_b32 v[26:27], 0, 0
	s_and_saveexec_b64 s[20:21], vcc
	s_cbranch_execz .LBB4_113
; %bb.104:                              ;   in Loop: Header=BB4_5 Depth=1
	v_bfe_u32 v3, v3, 23, 8
	v_sub_u32_e64 v7, s36, v3 clamp
	v_cmp_eq_u32_e32 vcc, 0, v3
	v_add_u32_e32 v19, 0xffffff88, v3
	v_cndmask_b32_e32 v3, v7, v34, vcc
	v_add_u32_e32 v7, 20, v3
	v_lshlrev_b64 v[26:27], v7, -1
	v_or_b32_e32 v8, 0x800000, v16
	v_not_b32_e32 v7, v27
	v_cndmask_b32_e32 v16, v8, v16, vcc
	v_not_b32_e32 v8, v26
	v_and_b32_e32 v27, 0, v7
	v_add_u32_e32 v7, 19, v3
	v_and_b32_e32 v26, v16, v8
	v_lshlrev_b64 v[28:29], v7, 1
	v_cmp_eq_u64_e64 s[0:1], v[26:27], v[28:29]
	v_lshrrev_b64 v[26:27], v3, v[16:17]
	v_and_b32_e32 v16, 0x100000, v26
	v_cndmask_b32_e32 v7, v19, v35, vcc
	v_cmp_eq_u64_e32 vcc, 0, v[16:17]
	v_lshrrev_b32_e32 v8, 23, v26
	s_and_b64 vcc, vcc, s[0:1]
	v_add3_u32 v7, v7, v3, v8
	v_subbrev_co_u32_e32 v3, vcc, 0, v26, vcc
	v_and_b32_e32 v3, 0xfffff, v3
	v_add_co_u32_e32 v26, vcc, v3, v26
	v_add_u32_e32 v8, -1, v7
	v_addc_co_u32_e32 v27, vcc, 0, v27, vcc
	v_cmp_ne_u32_e32 vcc, 0, v8
                                        ; implicit-def: $vgpr3
	s_and_saveexec_b64 s[0:1], vcc
	s_xor_b64 s[0:1], exec, s[0:1]
; %bb.105:                              ;   in Loop: Header=BB4_5 Depth=1
	v_and_b32_e32 v16, 0x1000000, v26
	v_cmp_eq_u64_e32 vcc, 0, v[16:17]
	v_cndmask_b32_e32 v3, v7, v8, vcc
	v_bfe_u32 v7, v26, 24, 1
	v_lshrrev_b64 v[26:27], v7, v[26:27]
; %bb.106:                              ;   in Loop: Header=BB4_5 Depth=1
	s_andn2_saveexec_b64 s[0:1], s[0:1]
; %bb.107:                              ;   in Loop: Header=BB4_5 Depth=1
	v_bfe_u32 v3, v26, 23, 1
; %bb.108:                              ;   in Loop: Header=BB4_5 Depth=1
	s_or_b64 exec, exec, s[0:1]
	v_lshrrev_b64 v[26:27], 20, v[26:27]
	v_cmp_gt_i32_e32 vcc, 16, v3
	v_cndmask_b32_e32 v29, 0, v27, vcc
	v_cndmask_b32_e32 v28, 7, v26, vcc
	v_cmp_ne_u32_e32 vcc, 0, v3
	v_cmp_ne_u64_e64 s[0:1], 0, v[28:29]
	s_or_b64 s[0:1], vcc, s[0:1]
                                        ; implicit-def: $vgpr26_vgpr27
	s_and_saveexec_b64 s[40:41], s[0:1]
	s_xor_b64 s[0:1], exec, s[40:41]
; %bb.109:                              ;   in Loop: Header=BB4_5 Depth=1
	v_min_i32_e32 v3, 15, v3
	v_lshl_or_b32 v3, v3, 3, v4
	v_and_or_b32 v26, v28, 7, v3
                                        ; implicit-def: $vgpr4
; %bb.110:                              ;   in Loop: Header=BB4_5 Depth=1
	s_andn2_saveexec_b64 s[0:1], s[0:1]
; %bb.111:                              ;   in Loop: Header=BB4_5 Depth=1
	v_pk_mov_b32 v[26:27], v[4:5], v[4:5] op_sel:[0,1]
; %bb.112:                              ;   in Loop: Header=BB4_5 Depth=1
	s_or_b64 exec, exec, s[0:1]
.LBB4_113:                              ;   in Loop: Header=BB4_5 Depth=1
	s_or_b64 exec, exec, s[20:21]
.LBB4_114:                              ;   in Loop: Header=BB4_5 Depth=1
	s_andn2_saveexec_b64 s[0:1], s[18:19]
	s_or_b64 exec, exec, s[0:1]
                                        ; implicit-def: $vgpr3
.LBB4_115:                              ;   in Loop: Header=BB4_5 Depth=1
	s_andn2_saveexec_b64 s[0:1], s[16:17]
; %bb.116:                              ;   in Loop: Header=BB4_5 Depth=1
	v_or_b32_sdwa v3, v3, s37 dst_sel:DWORD dst_unused:UNUSED_PAD src0_sel:BYTE_3 src1_sel:DWORD
	v_cmp_eq_u64_e32 vcc, 0, v[16:17]
	v_cndmask_b32_e32 v26, v3, v26, vcc
; %bb.117:                              ;   in Loop: Header=BB4_5 Depth=1
	s_or_b64 exec, exec, s[0:1]
	v_and_b32_e32 v3, 0xffff0000, v9
	v_xor_b32_e32 v4, 0x80000000, v3
	v_bfe_u32 v7, v4, 16, 1
	v_add3_u32 v4, v4, v7, s9
	v_and_b32_e32 v4, 0xffff0000, v4
	v_cmp_o_f32_e32 vcc, v3, v3
	v_cndmask_b32_e32 v4, v32, v4, vcc
	v_mul_f32_e32 v7, 0x3fb8aa3b, v4
	v_fma_f32 v8, v4, s31, -v7
	v_rndne_f32_e32 v9, v7
	v_fmac_f32_e32 v8, 0x32a5705f, v4
	v_sub_f32_e32 v7, v7, v9
	v_add_f32_e32 v7, v7, v8
	v_exp_f32_e32 v7, v7
	v_cvt_i32_f32_e32 v8, v9
	v_cmp_ngt_f32_e32 vcc, s33, v4
	v_mov_b32_e32 v29, v17
	v_ldexp_f32 v7, v7, v8
	v_cndmask_b32_e32 v7, 0, v7, vcc
	v_cmp_nlt_f32_e32 vcc, s34, v4
	v_cndmask_b32_e32 v4, v33, v7, vcc
	v_add_f32_e32 v4, 1.0, v4
	v_div_scale_f32 v7, s[0:1], v4, v4, v3
	v_rcp_f32_e32 v8, v7
	v_fma_f32 v9, -v7, v8, 1.0
	v_fmac_f32_e32 v8, v9, v8
	v_div_scale_f32 v9, vcc, v3, v4, v3
	v_mul_f32_e32 v16, v9, v8
	v_fma_f32 v19, -v7, v16, v9
	v_fmac_f32_e32 v16, v19, v8
	v_fma_f32 v7, -v7, v16, v9
	v_div_fmas_f32 v7, v7, v8, v16
	v_div_fixup_f32 v3, v7, v4, v3
	v_bfe_u32 v4, v3, 16, 1
	v_add3_u32 v4, v3, v4, s9
	v_and_b32_e32 v4, 0xffff0000, v4
	v_cmp_o_f32_e32 vcc, v3, v3
	v_cndmask_b32_e32 v3, v32, v4, vcc
	v_and_b32_e32 v4, 0xffff0000, v5
	v_mul_f32_e32 v3, v3, v4
	v_bfe_u32 v4, v3, 16, 1
	v_add3_u32 v4, v3, v4, s9
	v_and_b32_e32 v4, 0xffff0000, v4
	v_cmp_o_f32_e32 vcc, v3, v3
	v_cndmask_b32_e32 v3, v32, v4, vcc
	v_mul_f32_e32 v3, v10, v3
	v_min_f32_e32 v3, 0x43e00000, v3
	v_max_f32_e32 v3, 0xc3e00000, v3
	v_and_b32_sdwa v4, v3, s35 dst_sel:DWORD dst_unused:UNUSED_PAD src0_sel:BYTE_3 src1_sel:DWORD
	v_and_b32_e32 v28, 0x7f800000, v3
	v_and_b32_e32 v16, 0x7fffff, v3
	v_or_b32_e32 v8, 0x7e, v4
	v_cmp_ne_u64_e32 vcc, s[12:13], v[28:29]
	s_and_saveexec_b64 s[0:1], vcc
	s_xor_b64 s[16:17], exec, s[0:1]
	s_cbranch_execz .LBB4_131
; %bb.118:                              ;   in Loop: Header=BB4_5 Depth=1
	v_and_b32_e32 v28, 0x7fffffff, v3
	v_mov_b32_e32 v29, v17
	v_cmp_gt_u64_e32 vcc, s[14:15], v[28:29]
	s_and_saveexec_b64 s[0:1], vcc
	s_xor_b64 s[18:19], exec, s[0:1]
	s_cbranch_execz .LBB4_130
; %bb.119:                              ;   in Loop: Header=BB4_5 Depth=1
	v_cmp_ne_u32_e32 vcc, 0, v3
	v_pk_mov_b32 v[8:9], 0, 0
	s_and_saveexec_b64 s[20:21], vcc
	s_cbranch_execz .LBB4_129
; %bb.120:                              ;   in Loop: Header=BB4_5 Depth=1
	v_bfe_u32 v3, v3, 23, 8
	v_sub_u32_e64 v5, s36, v3 clamp
	v_cmp_eq_u32_e32 vcc, 0, v3
	v_add_u32_e32 v19, 0xffffff88, v3
	v_cndmask_b32_e32 v3, v5, v34, vcc
	v_add_u32_e32 v5, 20, v3
	v_lshlrev_b64 v[8:9], v5, -1
	v_or_b32_e32 v7, 0x800000, v16
	v_not_b32_e32 v5, v9
	v_cndmask_b32_e32 v16, v7, v16, vcc
	v_not_b32_e32 v7, v8
	v_and_b32_e32 v9, 0, v5
	v_add_u32_e32 v5, 19, v3
	v_and_b32_e32 v8, v16, v7
	v_lshlrev_b64 v[28:29], v5, 1
	v_cmp_eq_u64_e64 s[0:1], v[8:9], v[28:29]
	v_lshrrev_b64 v[8:9], v3, v[16:17]
	v_and_b32_e32 v16, 0x100000, v8
	v_cndmask_b32_e32 v5, v19, v35, vcc
	v_cmp_eq_u64_e32 vcc, 0, v[16:17]
	v_lshrrev_b32_e32 v7, 23, v8
	s_and_b64 vcc, vcc, s[0:1]
	v_add3_u32 v5, v5, v3, v7
	v_subbrev_co_u32_e32 v3, vcc, 0, v8, vcc
	v_and_b32_e32 v3, 0xfffff, v3
	v_add_co_u32_e32 v8, vcc, v3, v8
	v_add_u32_e32 v7, -1, v5
	v_addc_co_u32_e32 v9, vcc, 0, v9, vcc
	v_cmp_ne_u32_e32 vcc, 0, v7
                                        ; implicit-def: $vgpr3
	s_and_saveexec_b64 s[0:1], vcc
	s_xor_b64 s[0:1], exec, s[0:1]
; %bb.121:                              ;   in Loop: Header=BB4_5 Depth=1
	v_and_b32_e32 v16, 0x1000000, v8
	v_cmp_eq_u64_e32 vcc, 0, v[16:17]
	v_cndmask_b32_e32 v3, v5, v7, vcc
	v_bfe_u32 v5, v8, 24, 1
	v_lshrrev_b64 v[8:9], v5, v[8:9]
; %bb.122:                              ;   in Loop: Header=BB4_5 Depth=1
	s_andn2_saveexec_b64 s[0:1], s[0:1]
; %bb.123:                              ;   in Loop: Header=BB4_5 Depth=1
	v_bfe_u32 v3, v8, 23, 1
; %bb.124:                              ;   in Loop: Header=BB4_5 Depth=1
	s_or_b64 exec, exec, s[0:1]
	v_lshrrev_b64 v[8:9], 20, v[8:9]
	v_cmp_gt_i32_e32 vcc, 16, v3
	v_cndmask_b32_e32 v29, 0, v9, vcc
	v_cndmask_b32_e32 v28, 7, v8, vcc
	v_cmp_ne_u32_e32 vcc, 0, v3
	v_cmp_ne_u64_e64 s[0:1], 0, v[28:29]
	s_or_b64 s[0:1], vcc, s[0:1]
                                        ; implicit-def: $vgpr8_vgpr9
	s_and_saveexec_b64 s[40:41], s[0:1]
	s_xor_b64 s[0:1], exec, s[40:41]
; %bb.125:                              ;   in Loop: Header=BB4_5 Depth=1
	v_min_i32_e32 v3, 15, v3
	v_lshl_or_b32 v3, v3, 3, v4
	v_and_or_b32 v8, v28, 7, v3
                                        ; implicit-def: $vgpr4
; %bb.126:                              ;   in Loop: Header=BB4_5 Depth=1
	s_andn2_saveexec_b64 s[0:1], s[0:1]
; %bb.127:                              ;   in Loop: Header=BB4_5 Depth=1
	v_pk_mov_b32 v[8:9], v[4:5], v[4:5] op_sel:[0,1]
; %bb.128:                              ;   in Loop: Header=BB4_5 Depth=1
	s_or_b64 exec, exec, s[0:1]
.LBB4_129:                              ;   in Loop: Header=BB4_5 Depth=1
	s_or_b64 exec, exec, s[20:21]
.LBB4_130:                              ;   in Loop: Header=BB4_5 Depth=1
	s_andn2_saveexec_b64 s[0:1], s[18:19]
	s_or_b64 exec, exec, s[0:1]
                                        ; implicit-def: $vgpr3
.LBB4_131:                              ;   in Loop: Header=BB4_5 Depth=1
	s_andn2_saveexec_b64 s[0:1], s[16:17]
	s_cbranch_execz .LBB4_4
; %bb.132:                              ;   in Loop: Header=BB4_5 Depth=1
	v_or_b32_sdwa v3, v3, s37 dst_sel:DWORD dst_unused:UNUSED_PAD src0_sel:BYTE_3 src1_sel:DWORD
	v_cmp_eq_u64_e32 vcc, 0, v[16:17]
	v_cndmask_b32_e32 v8, v3, v8, vcc
	s_branch .LBB4_4
.LBB4_133:
	s_or_b64 exec, exec, s[4:5]
	s_sub_i32 s0, 8, s24
	s_cmp_gt_i32 s56, s0
	s_cbranch_scc0 .LBB4_164
; %bb.134:
	v_add_u32_e32 v0, s0, v0
	v_cmp_gt_i32_e32 vcc, s56, v0
	s_and_saveexec_b64 s[0:1], vcc
	s_cbranch_execz .LBB4_164
; %bb.135:
	s_load_dword s2, s[2:3], 0xc
	s_ashr_i32 s57, s56, 31
	v_mov_b32_e32 v2, s57
	v_mov_b32_e32 v1, 0
	s_mov_b32 s33, 0
	s_waitcnt lgkmcnt(0)
	s_and_b32 s76, s2, 0xffff
	v_add_co_u32_e32 v4, vcc, s76, v0
	v_addc_co_u32_e64 v5, s[0:1], 0, 0, vcc
	v_cmp_gt_i64_e32 vcc, s[56:57], v[4:5]
	v_cndmask_b32_e32 v6, v5, v2, vcc
	v_mov_b32_e32 v2, s56
	v_cndmask_b32_e32 v3, v4, v2, vcc
	v_cndmask_b32_e64 v2, 0, 1, vcc
	v_add_co_u32_e32 v4, vcc, v4, v2
	v_addc_co_u32_e32 v5, vcc, 0, v5, vcc
	v_sub_co_u32_e32 v3, vcc, v3, v4
	v_cmp_gt_u16_e64 s[0:1], s2, 1
	v_subb_co_u32_e32 v5, vcc, v6, v5, vcc
	s_and_b64 s[0:1], s[0:1], exec
	v_mov_b32_e32 v4, v1
	s_cselect_b32 s0, 0, 0
	s_cselect_b32 s4, s76, 1
	v_cmp_ne_u64_e32 vcc, 0, v[4:5]
                                        ; implicit-def: $vgpr6_vgpr7
	s_and_saveexec_b64 s[2:3], vcc
	s_xor_b64 s[2:3], exec, s[2:3]
	s_cbranch_execz .LBB4_137
; %bb.136:
	v_cvt_f32_u32_e32 v4, s4
	v_mov_b32_e32 v6, 0x4f800000
	s_sub_u32 s1, 0, s4
	s_subb_u32 s0, 0, s0
	v_mac_f32_e32 v4, 0, v6
	v_rcp_f32_e32 v4, v4
	v_mul_f32_e32 v4, 0x5f7ffffc, v4
	v_mul_f32_e32 v6, 0x2f800000, v4
	v_trunc_f32_e32 v6, v6
	v_madmk_f32 v4, v6, 0xcf800000, v4
	v_cvt_u32_f32_e32 v6, v6
	v_cvt_u32_f32_e32 v4, v4
	v_mul_lo_u32 v7, s1, v6
	v_mul_hi_u32 v9, s1, v4
	v_mul_lo_u32 v8, s0, v4
	v_add_u32_e32 v7, v9, v7
	v_mul_lo_u32 v11, s1, v4
	v_add_u32_e32 v7, v7, v8
	v_mul_hi_u32 v9, v4, v11
	v_mul_lo_u32 v12, v4, v7
	v_mul_hi_u32 v8, v4, v7
	v_add_co_u32_e32 v9, vcc, v9, v12
	v_addc_co_u32_e32 v8, vcc, 0, v8, vcc
	v_mul_hi_u32 v13, v6, v11
	v_mul_lo_u32 v11, v6, v11
	v_add_co_u32_e32 v9, vcc, v9, v11
	v_mul_hi_u32 v12, v6, v7
	v_addc_co_u32_e32 v8, vcc, v8, v13, vcc
	v_addc_co_u32_e32 v9, vcc, 0, v12, vcc
	v_mul_lo_u32 v7, v6, v7
	v_add_co_u32_e32 v7, vcc, v8, v7
	v_addc_co_u32_e32 v8, vcc, 0, v9, vcc
	v_add_co_u32_e32 v4, vcc, v4, v7
	v_addc_co_u32_e32 v6, vcc, v6, v8, vcc
	v_mul_lo_u32 v7, s1, v6
	v_mul_hi_u32 v8, s1, v4
	v_add_u32_e32 v7, v8, v7
	v_mul_lo_u32 v8, s0, v4
	v_add_u32_e32 v7, v7, v8
	v_mul_lo_u32 v9, s1, v4
	v_mul_hi_u32 v11, v6, v9
	v_mul_lo_u32 v12, v6, v9
	v_mul_lo_u32 v14, v4, v7
	v_mul_hi_u32 v9, v4, v9
	v_mul_hi_u32 v13, v4, v7
	v_add_co_u32_e32 v9, vcc, v9, v14
	v_addc_co_u32_e32 v13, vcc, 0, v13, vcc
	v_add_co_u32_e32 v9, vcc, v9, v12
	v_mul_hi_u32 v8, v6, v7
	v_addc_co_u32_e32 v9, vcc, v13, v11, vcc
	v_addc_co_u32_e32 v8, vcc, 0, v8, vcc
	v_mul_lo_u32 v7, v6, v7
	v_add_co_u32_e32 v7, vcc, v9, v7
	v_addc_co_u32_e32 v8, vcc, 0, v8, vcc
	v_add_co_u32_e32 v4, vcc, v4, v7
	v_addc_co_u32_e32 v8, vcc, v6, v8, vcc
	v_mad_u64_u32 v[6:7], s[0:1], v3, v8, 0
	v_mul_hi_u32 v9, v3, v4
	v_add_co_u32_e32 v11, vcc, v9, v6
	v_addc_co_u32_e32 v12, vcc, 0, v7, vcc
	v_mad_u64_u32 v[6:7], s[0:1], v5, v8, 0
	v_mad_u64_u32 v[8:9], s[0:1], v5, v4, 0
	v_add_co_u32_e32 v4, vcc, v11, v8
	v_addc_co_u32_e32 v4, vcc, v12, v9, vcc
	v_addc_co_u32_e32 v7, vcc, 0, v7, vcc
	v_add_co_u32_e32 v11, vcc, v4, v6
	v_addc_co_u32_e32 v12, vcc, 0, v7, vcc
	v_mad_u64_u32 v[6:7], s[0:1], s4, v11, 0
	v_mov_b32_e32 v4, v7
	v_mad_u64_u32 v[8:9], s[0:1], s4, v12, v[4:5]
	v_sub_co_u32_e32 v3, vcc, v3, v6
	v_subb_co_u32_e32 v4, vcc, v5, v8, vcc
	v_subrev_co_u32_e32 v5, vcc, s4, v3
	v_subbrev_co_u32_e32 v6, vcc, 0, v4, vcc
	v_cmp_le_u32_e32 vcc, s4, v5
	v_cndmask_b32_e64 v5, 0, -1, vcc
	v_cmp_eq_u32_e32 vcc, 0, v6
	v_cndmask_b32_e32 v5, -1, v5, vcc
	v_add_co_u32_e32 v6, vcc, 2, v11
	v_addc_co_u32_e32 v7, vcc, 0, v12, vcc
	v_add_co_u32_e32 v8, vcc, 1, v11
	v_cmp_le_u32_e64 s[0:1], s4, v3
	v_addc_co_u32_e32 v9, vcc, 0, v12, vcc
	v_cndmask_b32_e64 v3, 0, -1, s[0:1]
	v_cmp_eq_u32_e64 s[0:1], 0, v4
	v_cmp_ne_u32_e32 vcc, 0, v5
	v_cndmask_b32_e64 v3, -1, v3, s[0:1]
	v_cndmask_b32_e32 v5, v9, v7, vcc
	v_cmp_ne_u32_e64 s[0:1], 0, v3
	v_cndmask_b32_e32 v3, v8, v6, vcc
	v_cndmask_b32_e64 v7, v12, v5, s[0:1]
	v_cndmask_b32_e64 v6, v11, v3, s[0:1]
                                        ; implicit-def: $vgpr3
.LBB4_137:
	s_andn2_saveexec_b64 s[0:1], s[2:3]
	s_cbranch_execz .LBB4_139
; %bb.138:
	v_cvt_f32_u32_e32 v4, s4
	s_sub_i32 s2, 0, s4
	v_mov_b32_e32 v7, 0
	v_rcp_iflag_f32_e32 v4, v4
	v_mul_f32_e32 v4, 0x4f7ffffe, v4
	v_cvt_u32_f32_e32 v4, v4
	v_mul_lo_u32 v5, s2, v4
	v_mul_hi_u32 v5, v4, v5
	v_add_u32_e32 v4, v4, v5
	v_mul_hi_u32 v4, v3, v4
	v_mul_lo_u32 v5, v4, s4
	v_sub_u32_e32 v3, v3, v5
	v_add_u32_e32 v6, 1, v4
	v_subrev_u32_e32 v5, s4, v3
	v_cmp_le_u32_e32 vcc, s4, v3
	v_cndmask_b32_e32 v3, v3, v5, vcc
	v_cndmask_b32_e32 v4, v4, v6, vcc
	v_add_u32_e32 v5, 1, v4
	v_cmp_le_u32_e32 vcc, s4, v3
	v_cndmask_b32_e32 v6, v4, v5, vcc
.LBB4_139:
	s_or_b64 exec, exec, s[0:1]
	v_add_co_u32_e32 v2, vcc, v6, v2
	v_addc_co_u32_e32 v3, vcc, 0, v7, vcc
	v_add_co_u32_e32 v2, vcc, 1, v2
	v_addc_co_u32_e32 v3, vcc, 0, v3, vcc
	v_cmp_gt_u64_e32 vcc, 4, v[2:3]
	v_cmp_ne_u16_e64 s[0:1], s76, 1
                                        ; kill: def $vgpr4_vgpr5 killed $sgpr0_sgpr1 killed $exec
	s_or_b64 s[4:5], vcc, s[0:1]
	s_mov_b64 s[60:61], 0
	v_mov_b32_e32 v5, v3
                                        ; implicit-def: $sgpr2_sgpr3
                                        ; implicit-def: $sgpr0_sgpr1
	s_and_saveexec_b64 s[8:9], s[4:5]
	s_xor_b64 s[4:5], exec, s[8:9]
; %bb.140:
	s_lshl_b64 s[0:1], s[6:7], 2
	s_or_b32 s0, s0, 2
	s_mul_i32 s2, s0, s23
	s_mul_hi_u32 s3, s0, s22
	s_add_i32 s2, s3, s2
	s_mul_i32 s1, s1, s22
	s_mov_b64 s[60:61], exec
	s_add_i32 s3, s2, s1
	s_mul_i32 s2, s0, s22
	s_lshl_b64 s[0:1], s[58:59], 2
                                        ; implicit-def: $vgpr2_vgpr3
                                        ; implicit-def: $vgpr5
; %bb.141:
	s_or_saveexec_b64 s[62:63], s[4:5]
	v_pk_mov_b32 v[6:7], s[2:3], s[2:3] op_sel:[0,1]
	v_pk_mov_b32 v[8:9], s[0:1], s[0:1] op_sel:[0,1]
	s_xor_b64 exec, exec, s[62:63]
	s_cbranch_execz .LBB4_145
; %bb.142:
	s_lshl_b64 s[0:1], s[6:7], 2
	s_or_b32 s0, s0, 2
	s_mul_i32 s3, s0, s23
	s_mul_hi_u32 s4, s0, s22
	s_add_i32 s3, s4, s3
	s_mul_i32 s1, s1, s22
	s_lshl_b64 s[64:65], s[58:59], 2
	v_lshlrev_b32_e32 v6, 1, v0
	s_lshl_b32 s77, s76, 3
	s_add_i32 s67, s3, s1
	v_mov_b32_e32 v7, s55
	v_add_co_u32_e32 v6, vcc, s54, v6
	s_mul_i32 s66, s0, s22
	s_add_u32 s0, s52, s58
	v_addc_co_u32_e32 v7, vcc, 0, v7, vcc
	s_addc_u32 s1, s53, s59
	v_and_b32_e32 v4, -4, v2
	s_mov_b32 s2, 0
	v_mov_b32_e32 v9, s1
	v_add_co_u32_e32 v8, vcc, s0, v0
	v_mov_b32_e32 v11, v10
	v_addc_co_u32_e32 v9, vcc, 0, v9, vcc
	s_lshl_b32 s78, s76, 2
	s_mov_b64 s[68:69], 0
	v_mov_b32_e32 v50, s65
	v_mov_b32_e32 v51, s67
	s_movk_i32 s79, 0x7fff
	v_mov_b32_e32 v52, 0x7fc00000
	s_mov_b32 s80, 0x3fb8aa3b
	s_mov_b32 s81, 0xc2ce8ed0
	;; [unrolled: 1-line block ×3, first 2 shown]
	v_mov_b32_e32 v53, 0x7f800000
	v_mov_b32_e32 v12, v10
	;; [unrolled: 1-line block ×3, first 2 shown]
	s_movk_i32 s83, 0x80
	s_mov_b64 s[70:71], 0x7f800000
	s_mov_b64 s[72:73], 0x43e00000
	;; [unrolled: 1-line block ×3, first 2 shown]
	s_movk_i32 s84, 0x79
	v_mov_b32_e32 v54, 0x78
	v_mov_b32_e32 v55, 0xffffff89
	s_movk_i32 s85, 0x7f
	v_mov_b32_e32 v56, s2
	v_mov_b32_e32 v57, s2
	;; [unrolled: 1-line block ×3, first 2 shown]
	v_pk_mov_b32 v[16:17], v[4:5], v[4:5] op_sel:[0,1]
.LBB4_143:                              ; =>This Inner Loop Header: Depth=1
	v_add_co_u32_e32 v28, vcc, s64, v6
	v_addc_co_u32_e32 v29, vcc, v7, v50, vcc
	v_add_co_u32_e32 v40, vcc, s66, v6
	v_addc_co_u32_e32 v41, vcc, v7, v51, vcc
	global_load_dwordx2 v[42:43], v[28:29], off
	global_load_dwordx2 v[38:39], v[40:41], off
	v_mov_b32_e32 v23, v15
	v_mov_b32_e32 v27, v15
	v_mov_b32_e32 v25, v15
	v_mov_b32_e32 v21, v15
	v_mov_b32_e32 v19, v15
	v_mov_b32_e32 v31, v15
	v_mov_b32_e32 v37, v15
	v_mov_b32_e32 v35, v15
	v_mov_b32_e32 v33, v15
	v_mov_b32_e32 v49, v15
	s_waitcnt vmcnt(1)
	v_and_b32_e32 v14, 0xffff0000, v43
	v_lshlrev_b32_e32 v18, 16, v43
	v_xor_b32_e32 v28, 0x80000000, v18
	v_xor_b32_e32 v29, 0x80000000, v14
	v_and_b32_e32 v20, 0xffff0000, v42
	v_bfe_u32 v30, v29, 16, 1
	v_bfe_u32 v32, v28, 16, 1
	v_lshlrev_b32_e32 v22, 16, v42
	v_xor_b32_e32 v26, 0x80000000, v20
	v_add3_u32 v28, v28, v32, s79
	v_add3_u32 v29, v29, v30, s79
	v_xor_b32_e32 v24, 0x80000000, v22
	v_bfe_u32 v34, v26, 16, 1
	v_and_b32_e32 v29, 0xffff0000, v29
	v_and_b32_e32 v28, 0xffff0000, v28
	v_cmp_o_f32_e64 s[0:1], v18, v18
	v_cmp_o_f32_e64 s[2:3], v14, v14
	v_bfe_u32 v36, v24, 16, 1
	v_add3_u32 v26, v26, v34, s79
	v_cndmask_b32_e64 v28, v52, v28, s[0:1]
	v_cndmask_b32_e64 v30, v52, v29, s[2:3]
	v_add3_u32 v24, v24, v36, s79
	v_and_b32_e32 v26, 0xffff0000, v26
	v_cmp_o_f32_e32 vcc, v20, v20
	v_mul_f32_e32 v29, 0x3fb8aa3b, v30
	v_mul_f32_e32 v32, 0x3fb8aa3b, v28
	v_and_b32_e32 v24, 0xffff0000, v24
	v_cmp_o_f32_e64 s[4:5], v22, v22
	v_cndmask_b32_e32 v26, v52, v26, vcc
	v_fma_f32 v40, v30, s80, -v29
	v_rndne_f32_e32 v41, v29
	v_fma_f32 v42, v28, s80, -v32
	v_rndne_f32_e32 v43, v32
	v_cndmask_b32_e64 v24, v52, v24, s[4:5]
	v_mul_f32_e32 v34, 0x3fb8aa3b, v26
	v_fmac_f32_e32 v40, 0x32a5705f, v30
	v_sub_f32_e32 v29, v29, v41
	v_fmac_f32_e32 v42, 0x32a5705f, v28
	v_sub_f32_e32 v32, v32, v43
	v_mul_f32_e32 v36, 0x3fb8aa3b, v24
	v_fma_f32 v44, v26, s80, -v34
	v_rndne_f32_e32 v45, v34
	v_add_f32_e32 v40, v29, v40
	v_add_f32_e32 v32, v32, v42
	v_fma_f32 v29, v24, s80, -v36
	v_rndne_f32_e32 v42, v36
	v_fmac_f32_e32 v44, 0x32a5705f, v26
	v_sub_f32_e32 v34, v34, v45
	v_cvt_i32_f32_e32 v41, v41
	v_cvt_i32_f32_e32 v43, v43
	v_exp_f32_e32 v40, v40
	v_exp_f32_e32 v32, v32
	v_fmac_f32_e32 v29, 0x32a5705f, v24
	v_sub_f32_e32 v36, v36, v42
	v_add_f32_e32 v34, v34, v44
	v_add_f32_e32 v36, v36, v29
	v_cvt_i32_f32_e32 v44, v45
	v_exp_f32_e32 v34, v34
	v_cvt_i32_f32_e32 v42, v42
	v_exp_f32_e32 v36, v36
	v_ldexp_f32 v40, v40, v41
	v_ldexp_f32 v32, v32, v43
	v_cmp_ngt_f32_e32 vcc, s81, v28
	v_cmp_ngt_f32_e64 s[4:5], s81, v30
	v_cndmask_b32_e64 v40, 0, v40, s[4:5]
	v_cndmask_b32_e32 v32, 0, v32, vcc
	v_cmp_nlt_f32_e32 vcc, s82, v28
	v_cmp_nlt_f32_e64 s[4:5], s82, v30
	v_ldexp_f32 v34, v34, v44
	v_cmp_ngt_f32_e64 s[0:1], s81, v26
	v_cndmask_b32_e64 v41, v53, v40, s[4:5]
	v_cndmask_b32_e32 v40, v53, v32, vcc
	v_ldexp_f32 v36, v36, v42
	v_cmp_ngt_f32_e64 s[2:3], s81, v24
	v_cndmask_b32_e64 v28, 0, v34, s[0:1]
	v_cmp_nlt_f32_e64 s[0:1], s82, v26
	v_pk_add_f32 v[40:41], v[40:41], 1.0 op_sel_hi:[1,0]
	v_cndmask_b32_e64 v26, 0, v36, s[2:3]
	v_cmp_nlt_f32_e64 s[2:3], s82, v24
	v_cndmask_b32_e64 v43, v53, v28, s[0:1]
	v_div_scale_f32 v24, s[0:1], v41, v41, v14
	v_rcp_f32_e32 v32, v24
	v_div_scale_f32 v28, s[0:1], v40, v40, v18
	v_rcp_f32_e32 v34, v28
	v_fma_f32 v36, -v24, v32, 1.0
	v_cndmask_b32_e64 v42, v53, v26, s[2:3]
	v_div_scale_f32 v26, vcc, v14, v41, v14
	v_fmac_f32_e32 v32, v36, v32
	v_fma_f32 v44, -v28, v34, 1.0
	v_mul_f32_e32 v36, v26, v32
	v_fmac_f32_e32 v34, v44, v34
	v_fma_f32 v44, -v24, v36, v26
	v_fmac_f32_e32 v36, v44, v32
	v_div_scale_f32 v30, s[2:3], v18, v40, v18
	v_fma_f32 v24, -v24, v36, v26
	v_div_fmas_f32 v24, v24, v32, v36
	v_mul_f32_e32 v32, v30, v34
	v_pk_add_f32 v[42:43], v[42:43], 1.0 op_sel_hi:[1,0]
	v_fma_f32 v36, -v28, v32, v30
	v_div_scale_f32 v44, s[0:1], v43, v43, v20
	v_fmac_f32_e32 v32, v36, v34
	v_fma_f32 v28, -v28, v32, v30
	v_rcp_f32_e32 v30, v44
	v_div_scale_f32 v36, s[4:5], v42, v42, v22
	s_mov_b64 vcc, s[2:3]
	v_div_fmas_f32 v28, v28, v34, v32
	v_rcp_f32_e32 v32, v36
	v_fma_f32 v34, -v44, v30, 1.0
	v_div_scale_f32 v26, s[0:1], v20, v43, v20
	v_fmac_f32_e32 v30, v34, v30
	v_fma_f32 v34, -v36, v32, 1.0
	v_div_fixup_f32 v14, v24, v41, v14
	v_mul_f32_e32 v24, v26, v30
	v_fmac_f32_e32 v32, v34, v32
	v_div_scale_f32 v34, s[2:3], v22, v42, v22
	v_div_fixup_f32 v18, v28, v40, v18
	v_fma_f32 v40, -v44, v24, v26
	v_mul_f32_e32 v28, v34, v32
	v_fmac_f32_e32 v24, v40, v30
	v_fma_f32 v41, -v36, v28, v34
	v_fma_f32 v26, -v44, v24, v26
	s_mov_b64 vcc, s[0:1]
	v_fmac_f32_e32 v28, v41, v32
	v_div_fmas_f32 v24, v26, v30, v24
	v_fma_f32 v34, -v36, v28, v34
	v_div_fixup_f32 v20, v24, v43, v20
	v_bfe_u32 v24, v14, 16, 1
	s_mov_b64 vcc, s[2:3]
	v_div_fmas_f32 v26, v34, v32, v28
	v_bfe_u32 v28, v18, 16, 1
	v_add3_u32 v24, v14, v24, s79
	v_div_fixup_f32 v26, v26, v42, v22
	v_add3_u32 v22, v18, v28, s79
	v_and_b32_e32 v24, 0xffff0000, v24
	v_cmp_o_f32_e32 vcc, v14, v14
	v_and_b32_e32 v14, 0xffff0000, v22
	v_cndmask_b32_e32 v43, v52, v24, vcc
	v_cmp_o_f32_e32 vcc, v18, v18
	s_waitcnt vmcnt(0)
	v_and_b32_e32 v47, 0xffff0000, v39
	v_lshlrev_b32_e32 v46, 16, v39
	v_cndmask_b32_e32 v42, v52, v14, vcc
	v_pk_mul_f32 v[42:43], v[42:43], v[46:47]
	v_bfe_u32 v14, v42, 16, 1
	v_bfe_u32 v18, v43, 16, 1
	v_add3_u32 v18, v43, v18, s79
	v_add3_u32 v14, v42, v14, s79
	v_and_b32_e32 v14, 0xffff0000, v14
	v_and_b32_e32 v18, 0xffff0000, v18
	v_cmp_o_f32_e32 vcc, v42, v42
	v_cmp_o_f32_e64 s[0:1], v43, v43
	v_cndmask_b32_e64 v43, v52, v18, s[0:1]
	v_cndmask_b32_e32 v42, v52, v14, vcc
	v_pk_mul_f32 v[42:43], v[12:13], v[42:43]
	v_min_f32_e32 v18, 0x43e00000, v43
	v_max_f32_e32 v48, 0xc3e00000, v18
	v_bfe_u32 v60, v48, 23, 8
	v_sub_u32_e64 v18, s84, v60 clamp
	v_cmp_eq_u32_e64 s[10:11], 0, v60
	v_min_f32_e32 v14, 0x43e00000, v42
	v_cndmask_b32_e64 v61, v18, v54, s[10:11]
	v_max_f32_e32 v58, 0xc3e00000, v14
	v_and_b32_e32 v22, 0x7fffff, v48
	v_add_u32_e32 v18, 20, v61
	v_bfe_u32 v59, v58, 23, 8
	v_or_b32_e32 v28, 0x800000, v22
	v_lshlrev_b64 v[46:47], v18, -1
	v_and_b32_e32 v14, 0x7fffff, v58
	v_sub_u32_e64 v24, s84, v59 clamp
	v_cndmask_b32_e64 v42, v28, v22, s[10:11]
	v_not_b32_e32 v18, v46
	v_add_u32_e32 v28, 19, v61
	v_cmp_eq_u32_e64 s[12:13], 0, v59
	v_mov_b32_e32 v45, v15
	v_and_b32_e32 v44, v42, v18
	v_lshlrev_b64 v[46:47], v28, 1
	v_or_b32_e32 v18, 0x800000, v14
	v_cndmask_b32_e64 v62, v24, v54, s[12:13]
	v_cmp_eq_u64_e32 vcc, v[44:45], v[46:47]
	v_cndmask_b32_e64 v44, v18, v14, s[12:13]
	v_add_u32_e32 v18, 20, v62
	v_lshlrev_b64 v[46:47], v18, -1
	v_not_b32_e32 v18, v46
	v_add_u32_e32 v24, 19, v62
	v_and_b32_e32 v40, v44, v18
	v_bfe_u32 v18, v20, 16, 1
	v_lshlrev_b64 v[46:47], v24, 1
	v_bfe_u32 v24, v26, 16, 1
	v_add3_u32 v18, v20, v18, s79
	v_add3_u32 v24, v26, v24, s79
	v_and_b32_e32 v18, 0xffff0000, v18
	v_cmp_o_f32_e64 s[2:3], v20, v20
	v_mov_b32_e32 v41, v15
	v_and_b32_e32 v20, 0xffff0000, v24
	v_cndmask_b32_e64 v65, v52, v18, s[2:3]
	v_cmp_o_f32_e64 s[2:3], v26, v26
	v_cmp_eq_u64_e64 s[0:1], v[40:41], v[46:47]
	v_and_b32_e32 v41, 0xffff0000, v38
	v_lshlrev_b32_e32 v40, 16, v38
	v_cndmask_b32_e64 v64, v52, v20, s[2:3]
	v_pk_mul_f32 v[40:41], v[64:65], v[40:41]
	v_bfe_u32 v18, v40, 16, 1
	v_bfe_u32 v20, v41, 16, 1
	v_add3_u32 v20, v41, v20, s79
	v_add3_u32 v18, v40, v18, s79
	v_and_b32_e32 v18, 0xffff0000, v18
	v_and_b32_e32 v20, 0xffff0000, v20
	v_cmp_o_f32_e64 s[2:3], v40, v40
	v_cmp_o_f32_e64 s[4:5], v41, v41
	v_cndmask_b32_e64 v41, v52, v20, s[4:5]
	v_cndmask_b32_e64 v40, v52, v18, s[2:3]
	v_pk_mul_f32 v[40:41], v[10:11], v[40:41]
	v_min_f32_e32 v20, 0x43e00000, v41
	v_cmp_eq_u64_e64 s[30:31], 0, v[22:23]
	v_max_f32_e32 v22, 0xc3e00000, v20
	v_min_f32_e32 v18, 0x43e00000, v40
	v_and_b32_e32 v26, 0x7f800000, v22
	v_mov_b32_e32 v47, v15
	v_cmp_ne_u64_e64 s[18:19], s[70:71], v[26:27]
	v_max_f32_e32 v26, 0xc3e00000, v18
	v_and_b32_e32 v46, 0x7fffffff, v22
	v_and_b32_e32 v24, 0x7f800000, v26
	;; [unrolled: 1-line block ×3, first 2 shown]
	v_cmp_lt_u64_e64 s[34:35], s[72:73], v[46:47]
	v_cmp_gt_u64_e64 s[22:23], s[74:75], v[46:47]
	v_bfe_u32 v47, v22, 23, 8
	v_cmp_ne_u64_e64 s[20:21], s[70:71], v[24:25]
	v_and_b32_e32 v18, 0x7fffff, v26
	v_bfe_u32 v46, v26, 23, 8
	v_sub_u32_e64 v24, s84, v47 clamp
	v_or_b32_e32 v25, 0x800000, v20
	v_cmp_eq_u32_e64 s[38:39], 0, v47
	v_mov_b32_e32 v43, v15
	v_cndmask_b32_e64 v63, v24, v54, s[38:39]
	v_cndmask_b32_e64 v38, v25, v20, s[38:39]
	v_sub_u32_e64 v24, s84, v46 clamp
	v_cmp_eq_u64_e64 s[40:41], 0, v[20:21]
	v_or_b32_e32 v20, 0x800000, v18
	v_cmp_eq_u32_e64 s[42:43], 0, v46
	v_cndmask_b32_e64 v64, v24, v54, s[42:43]
	v_cndmask_b32_e64 v40, v20, v18, s[42:43]
	v_add_u32_e32 v20, 0xffffff88, v60
	v_lshrrev_b64 v[24:25], v61, v[42:43]
	v_mov_b32_e32 v29, v15
	v_and_b32_e32 v30, 0x7f800000, v48
	v_and_b32_e32 v36, 0x7fffffff, v48
	;; [unrolled: 1-line block ×3, first 2 shown]
	v_cndmask_b32_e64 v20, v20, v55, s[10:11]
	v_cmp_eq_u64_e64 s[10:11], 0, v[18:19]
	v_lshrrev_b32_e32 v18, 23, v24
	v_cmp_ne_u64_e64 s[2:3], s[70:71], v[30:31]
	v_cmp_lt_u64_e64 s[14:15], s[72:73], v[36:37]
	v_and_b32_e32 v34, 0x7fffffff, v58
	v_cmp_lt_u64_e64 s[36:37], s[72:73], v[28:29]
	v_cmp_gt_u64_e64 s[24:25], s[74:75], v[28:29]
	v_add3_u32 v18, v20, v61, v18
	v_add_u32_e32 v20, 0xffffff88, v59
	v_lshrrev_b64 v[28:29], v62, v[44:45]
	v_and_b32_e32 v32, 0x7f800000, v58
	v_cmp_lt_u64_e64 s[16:17], s[72:73], v[34:35]
	v_cmp_gt_u64_e64 s[8:9], s[74:75], v[34:35]
	v_cndmask_b32_e64 v20, v20, v55, s[12:13]
	v_lshrrev_b32_e32 v30, 23, v28
	v_and_b32_sdwa v43, v48, s83 dst_sel:DWORD dst_unused:UNUSED_PAD src0_sel:BYTE_3 src1_sel:DWORD
	v_and_b32_e32 v34, 0x100000, v24
	s_and_b64 s[14:15], s[2:3], s[14:15]
	v_cmp_ne_u64_e64 s[4:5], s[70:71], v[32:33]
	v_add3_u32 v42, v20, v62, v30
	v_or_b32_sdwa v30, v48, s85 dst_sel:DWORD dst_unused:UNUSED_PAD src0_sel:BYTE_3 src1_sel:DWORD
	v_cmp_eq_u64_e64 s[12:13], 0, v[34:35]
	v_or_b32_e32 v34, 0x7e, v43
	s_or_b64 s[14:15], s[14:15], s[30:31]
	v_and_b32_sdwa v44, v58, s83 dst_sel:DWORD dst_unused:UNUSED_PAD src0_sel:BYTE_3 src1_sel:DWORD
	v_cmp_eq_u64_e64 s[48:49], 0, v[14:15]
	v_cndmask_b32_e64 v14, v30, v34, s[14:15]
	s_and_b64 s[14:15], s[4:5], s[16:17]
	v_or_b32_sdwa v20, v58, s85 dst_sel:DWORD dst_unused:UNUSED_PAD src0_sel:BYTE_3 src1_sel:DWORD
	v_or_b32_e32 v32, 0x7e, v44
	s_or_b64 s[14:15], s[14:15], s[48:49]
	v_add_u32_e32 v30, 20, v63
	v_cmp_gt_u64_e64 s[6:7], s[74:75], v[36:37]
	v_cndmask_b32_e64 v20, v20, v32, s[14:15]
	v_and_b32_e32 v36, 0x100000, v28
	v_add_u32_e32 v32, 20, v64
	v_lshlrev_b64 v[34:35], v30, -1
	v_cmp_eq_u64_e64 s[14:15], 0, v[36:37]
	v_not_b32_e32 v36, v34
	v_lshlrev_b64 v[34:35], v32, -1
	v_mov_b32_e32 v41, v15
	v_cmp_eq_u32_e64 s[28:29], 0, v58
	v_cmp_ne_u32_e64 s[44:45], 0, v58
	v_and_b32_sdwa v45, v22, s83 dst_sel:DWORD dst_unused:UNUSED_PAD src0_sel:BYTE_3 src1_sel:DWORD
	v_not_b32_e32 v30, v34
	v_and_b32_sdwa v58, v26, s83 dst_sel:DWORD dst_unused:UNUSED_PAD src0_sel:BYTE_3 src1_sel:DWORD
	v_add_u32_e32 v34, 0xffffff88, v47
	v_add_u32_e32 v35, 0xffffff88, v46
	s_and_b64 s[34:35], s[18:19], s[34:35]
	s_and_b64 s[36:37], s[20:21], s[36:37]
	v_mov_b32_e32 v39, v15
	v_cmp_eq_u32_e64 s[26:27], 0, v48
	v_cmp_ne_u32_e64 s[46:47], 0, v48
	v_cmp_eq_u32_e64 s[16:17], 0, v22
	v_cmp_eq_u32_e64 s[30:31], 0, v26
	v_cmp_ne_u32_e64 s[48:49], 0, v26
	v_cmp_ne_u32_e64 s[50:51], 0, v22
	v_or_b32_sdwa v26, v26, s85 dst_sel:DWORD dst_unused:UNUSED_PAD src0_sel:BYTE_3 src1_sel:DWORD
	v_or_b32_sdwa v22, v22, s85 dst_sel:DWORD dst_unused:UNUSED_PAD src0_sel:BYTE_3 src1_sel:DWORD
	v_or_b32_e32 v48, 0x7e, v58
	v_or_b32_e32 v59, 0x7e, v45
	v_cndmask_b32_e64 v46, v35, v55, s[42:43]
	v_cndmask_b32_e64 v47, v34, v55, s[38:39]
	v_lshrrev_b64 v[34:35], v64, v[40:41]
	s_or_b64 s[34:35], s[34:35], s[40:41]
	s_or_b64 s[10:11], s[36:37], s[10:11]
	s_and_b64 s[4:5], s[4:5], s[8:9]
	v_and_b32_e32 v32, v38, v36
	v_lshrrev_b64 v[36:37], v63, v[38:39]
	v_cndmask_b32_e64 v22, v22, v59, s[34:35]
	v_cndmask_b32_e64 v38, v26, v48, s[10:11]
	v_lshrrev_b32_e32 v26, 23, v34
	s_and_b64 s[2:3], s[2:3], s[6:7]
	s_and_b64 s[34:35], s[4:5], s[44:45]
	;; [unrolled: 1-line block ×3, first 2 shown]
	v_and_b32_e32 v30, v40, v30
	v_add3_u32 v46, v46, v64, v26
	s_and_b64 s[36:37], s[2:3], s[46:47]
	s_and_b64 s[2:3], s[2:3], s[26:27]
	v_cndmask_b32_e64 v59, v20, 0, s[4:5]
	v_add_u32_e32 v20, 19, v63
	v_add_u32_e32 v40, 19, v64
	v_and_b32_e32 v26, 0x100000, v36
	s_and_b64 vcc, s[12:13], vcc
	s_and_b64 s[8:9], s[18:19], s[22:23]
	v_cndmask_b32_e64 v14, v14, 0, s[2:3]
	v_cmp_eq_u64_e64 s[2:3], 0, v[26:27]
	v_lshlrev_b64 v[26:27], v40, 1
	v_lshlrev_b64 v[40:41], v20, 1
	v_subbrev_co_u32_e32 v20, vcc, 0, v24, vcc
	s_and_b64 s[6:7], s[20:21], s[24:25]
	s_and_b64 s[20:21], s[8:9], s[50:51]
	;; [unrolled: 1-line block ×3, first 2 shown]
	s_and_b64 vcc, s[14:15], s[0:1]
	v_and_b32_e32 v48, 0x100000, v34
	v_cndmask_b32_e64 v60, v22, 0, s[8:9]
	v_subbrev_co_u32_e32 v22, vcc, 0, v28, vcc
	v_cmp_eq_u64_e64 s[4:5], 0, v[48:49]
	v_cmp_eq_u64_e32 vcc, v[30:31], v[26:27]
	s_and_b64 vcc, s[4:5], vcc
	v_and_b32_e32 v20, 0xfffff, v20
	v_subbrev_co_u32_e32 v31, vcc, 0, v34, vcc
	v_cmp_eq_u64_e64 s[16:17], v[32:33], v[40:41]
	v_add_co_u32_e32 v24, vcc, v20, v24
	v_and_b32_e32 v22, 0xfffff, v22
	s_and_b64 s[2:3], s[2:3], s[16:17]
	v_addc_co_u32_e32 v25, vcc, 0, v25, vcc
	v_subbrev_co_u32_e64 v30, s[2:3], 0, v36, s[2:3]
	v_add_co_u32_e32 v26, vcc, v22, v28
	v_addc_co_u32_e32 v27, vcc, 0, v29, vcc
	v_and_b32_e32 v28, 0xfffff, v30
	v_add_co_u32_e32 v28, vcc, v28, v36
	v_and_b32_e32 v31, 0xfffff, v31
	v_addc_co_u32_e32 v29, vcc, 0, v37, vcc
	v_add_co_u32_e32 v30, vcc, v31, v34
	v_lshrrev_b32_e32 v39, 23, v36
	s_and_b64 s[18:19], s[6:7], s[48:49]
	s_and_b64 s[6:7], s[6:7], s[30:31]
	v_add_u32_e32 v48, -1, v42
	v_add_u32_e32 v49, -1, v18
	v_and_b32_e32 v22, 0x1000000, v26
	v_and_b32_e32 v20, 0x1000000, v24
	v_addc_co_u32_e32 v31, vcc, 0, v35, vcc
	v_add3_u32 v47, v47, v63, v39
	v_cndmask_b32_e64 v61, v38, 0, s[6:7]
	v_cmp_ne_u32_e64 s[6:7], 0, v49
	v_cmp_ne_u32_e64 s[8:9], 0, v48
	v_cmp_eq_u64_e32 vcc, 0, v[22:23]
	v_cmp_eq_u64_e64 s[2:3], 0, v[20:21]
	v_mov_b32_e32 v39, v15
	v_add_u32_e32 v32, -1, v46
	v_add_u32_e32 v33, -1, v47
	v_bfe_u32 v40, v26, 23, 1
	v_bfe_u32 v41, v24, 23, 1
	v_cndmask_b32_e32 v22, v42, v48, vcc
	s_and_b64 vcc, s[34:35], s[8:9]
	v_cndmask_b32_e64 v20, v18, v49, s[2:3]
	s_and_b64 s[2:3], s[36:37], s[6:7]
	v_and_b32_e32 v18, 0x1000000, v30
	v_and_b32_e32 v38, 0x1000000, v28
	v_cmp_ne_u32_e64 s[0:1], 0, v33
	v_cmp_ne_u32_e64 s[12:13], 0, v32
	v_cndmask_b32_e64 v34, v41, v20, s[2:3]
	v_cndmask_b32_e32 v22, v40, v22, vcc
	v_cndmask_b32_e64 v20, 0, 1, s[2:3]
	v_cndmask_b32_e64 v35, 0, 1, vcc
	v_cmp_eq_u64_e32 vcc, 0, v[18:19]
	v_cmp_eq_u64_e64 s[2:3], 0, v[38:39]
	v_bfe_u32 v21, v30, 23, 1
	v_bfe_u32 v23, v28, 23, 1
	v_cndmask_b32_e32 v18, v46, v32, vcc
	s_and_b64 vcc, s[18:19], s[12:13]
	v_cndmask_b32_e64 v19, v47, v33, s[2:3]
	v_and_b32_sdwa v32, v35, v26 dst_sel:DWORD dst_unused:UNUSED_PAD src0_sel:DWORD src1_sel:BYTE_3
	s_and_b64 s[0:1], s[20:21], s[0:1]
	v_and_b32_sdwa v20, v20, v24 dst_sel:DWORD dst_unused:UNUSED_PAD src0_sel:DWORD src1_sel:BYTE_3
	v_cndmask_b32_e64 v36, v23, v19, s[0:1]
	v_cndmask_b32_e32 v37, v21, v18, vcc
	v_lshrrev_b64 v[18:19], v32, v[26:27]
	v_cndmask_b32_e64 v23, 0, 1, s[0:1]
	v_cndmask_b32_e64 v38, 0, 1, vcc
	v_lshrrev_b64 v[20:21], v20, v[24:25]
	v_lshrrev_b64 v[18:19], 20, v[18:19]
	v_cmp_gt_i32_e64 s[8:9], 16, v22
	v_and_b32_sdwa v24, v23, v28 dst_sel:DWORD dst_unused:UNUSED_PAD src0_sel:DWORD src1_sel:BYTE_3
	v_and_b32_sdwa v23, v38, v30 dst_sel:DWORD dst_unused:UNUSED_PAD src0_sel:DWORD src1_sel:BYTE_3
	v_lshrrev_b64 v[20:21], 20, v[20:21]
	v_cmp_gt_i32_e32 vcc, 16, v34
	v_cndmask_b32_e64 v19, 0, v19, s[8:9]
	v_cndmask_b32_e64 v18, 7, v18, s[8:9]
	v_cmp_eq_u32_e64 s[4:5], 0, v22
	v_min_i32_e32 v33, 15, v34
	v_min_i32_e32 v35, 15, v22
	v_lshrrev_b64 v[22:23], v23, v[30:31]
	v_lshrrev_b64 v[24:25], v24, v[28:29]
	v_cndmask_b32_e32 v21, 0, v21, vcc
	v_cndmask_b32_e32 v20, 7, v20, vcc
	v_cmp_eq_u64_e64 s[12:13], 0, v[18:19]
	v_cmp_eq_u32_e64 s[2:3], 0, v34
	v_lshl_or_b32 v26, v35, 3, v44
	v_lshl_or_b32 v27, v33, 3, v43
	v_min_i32_e32 v32, 15, v36
	v_lshrrev_b64 v[24:25], 20, v[24:25]
	v_lshrrev_b64 v[22:23], 20, v[22:23]
	v_cmp_gt_i32_e32 vcc, 16, v36
	v_cmp_eq_u64_e64 s[8:9], 0, v[20:21]
	v_cmp_gt_i32_e64 s[14:15], 16, v37
	s_and_b64 s[4:5], s[4:5], s[12:13]
	v_lshl_or_b32 v29, v32, 3, v45
	v_and_or_b32 v27, v20, 7, v27
	v_and_or_b32 v26, v18, 7, v26
	v_cndmask_b32_e64 v19, 0, v23, s[14:15]
	v_cndmask_b32_e64 v18, 7, v22, s[14:15]
	v_cndmask_b32_e32 v21, 0, v25, vcc
	v_cndmask_b32_e32 v20, 7, v24, vcc
	s_and_b64 s[8:9], s[2:3], s[8:9]
	s_xor_b64 s[14:15], s[4:5], -1
	s_and_b64 s[4:5], s[34:35], s[4:5]
	v_cmp_eq_u32_e64 s[0:1], 0, v36
	v_cmp_eq_u64_e32 vcc, 0, v[20:21]
	v_cmp_eq_u64_e64 s[2:3], 0, v[18:19]
	s_xor_b64 s[12:13], s[8:9], -1
	v_and_or_b32 v19, v20, 7, v29
	v_cndmask_b32_e64 v20, v59, v44, s[4:5]
	s_and_b64 s[4:5], s[36:37], s[8:9]
	v_cmp_eq_u32_e64 s[6:7], 0, v37
	v_cndmask_b32_e64 v14, v14, v43, s[4:5]
	s_and_b64 s[0:1], s[0:1], vcc
	s_and_b64 vcc, s[36:37], s[12:13]
	s_and_b64 s[2:3], s[6:7], s[2:3]
	v_cndmask_b32_e32 v14, v14, v27, vcc
	s_and_b64 vcc, s[34:35], s[14:15]
	v_cndmask_b32_e32 v20, v20, v26, vcc
	s_and_b64 vcc, s[18:19], s[2:3]
	v_min_i32_e32 v33, 15, v37
	s_xor_b64 s[4:5], s[0:1], -1
	v_cndmask_b32_e32 v21, v61, v58, vcc
	s_and_b64 vcc, s[20:21], s[0:1]
	v_lshl_or_b32 v28, v33, 3, v58
	s_xor_b64 s[6:7], s[2:3], -1
	v_cndmask_b32_e32 v22, v60, v45, vcc
	s_and_b64 vcc, s[20:21], s[4:5]
	v_add_co_u32_e64 v16, s[10:11], -4, v16
	v_and_or_b32 v18, v18, 7, v28
	v_cndmask_b32_e32 v19, v22, v19, vcc
	s_and_b64 vcc, s[18:19], s[6:7]
	v_addc_co_u32_e64 v17, s[10:11], -1, v17, s[10:11]
	v_lshlrev_b16_e32 v14, 8, v14
	v_cndmask_b32_e32 v18, v21, v18, vcc
	v_lshlrev_b16_e32 v19, 8, v19
	v_add_co_u32_e64 v6, s[10:11], s77, v6
	v_or_b32_sdwa v14, v20, v14 dst_sel:WORD_1 dst_unused:UNUSED_PAD src0_sel:BYTE_0 src1_sel:DWORD
	v_or_b32_sdwa v18, v18, v19 dst_sel:DWORD dst_unused:UNUSED_PAD src0_sel:BYTE_0 src1_sel:DWORD
	v_addc_co_u32_e64 v7, s[10:11], v7, v56, s[10:11]
	v_or_b32_sdwa v14, v18, v14 dst_sel:DWORD dst_unused:UNUSED_PAD src0_sel:WORD_0 src1_sel:DWORD
	v_cmp_eq_u64_e64 s[10:11], 0, v[16:17]
	global_store_dword v[8:9], v14, off
	v_add_co_u32_e32 v8, vcc, s78, v8
	s_or_b64 s[68:69], s[10:11], s[68:69]
	v_addc_co_u32_e32 v9, vcc, v9, v57, vcc
	s_andn2_b64 exec, exec, s[68:69]
	s_cbranch_execnz .LBB4_143
; %bb.144:
	s_or_b64 exec, exec, s[68:69]
	v_mad_u64_u32 v[0:1], s[0:1], v4, s76, v[0:1]
	v_mov_b32_e32 v6, v1
	v_mad_u64_u32 v[6:7], s[0:1], v5, s76, v[6:7]
	v_cmp_ne_u64_e32 vcc, v[2:3], v[4:5]
	s_andn2_b64 s[0:1], s[60:61], exec
	s_and_b64 s[2:3], vcc, exec
	v_mov_b32_e32 v1, v6
	v_pk_mov_b32 v[6:7], s[66:67], s[66:67] op_sel:[0,1]
	v_pk_mov_b32 v[8:9], s[64:65], s[64:65] op_sel:[0,1]
	s_or_b64 s[60:61], s[0:1], s[2:3]
.LBB4_145:
	s_or_b64 exec, exec, s[62:63]
	s_and_b64 exec, exec, s[60:61]
	s_cbranch_execz .LBB4_164
; %bb.146:
	v_lshlrev_b64 v[2:3], 1, v[0:1]
	s_add_u32 s14, s52, s58
	v_mov_b32_e32 v4, s55
	v_add_co_u32_e32 v2, vcc, s54, v2
	s_addc_u32 s15, s53, s59
	v_addc_co_u32_e32 v3, vcc, v4, v3, vcc
	s_lshl_b32 s16, s76, 1
	s_mov_b32 s17, 0
	s_mov_b64 s[2:3], 0
	s_movk_i32 s18, 0x7fff
	v_mov_b32_e32 v11, 0x7fc00000
	s_mov_b32 s19, 0x3fb8aa3b
	s_mov_b32 s20, 0xc2ce8ed0
	;; [unrolled: 1-line block ×3, first 2 shown]
	v_mov_b32_e32 v14, 0x7f800000
	v_mov_b32_e32 v5, 0
	s_movk_i32 s22, 0x80
	s_mov_b64 s[4:5], 0x7f800000
	s_mov_b64 s[6:7], 0x43e00001
	s_movk_i32 s23, 0x79
	s_movk_i32 s24, 0x7f
	v_mov_b32_e32 v15, 0x78
	v_mov_b32_e32 v16, 0xffffff89
	s_branch .LBB4_148
.LBB4_147:                              ;   in Loop: Header=BB4_148 Depth=1
	s_or_b64 exec, exec, s[0:1]
	v_mov_b32_e32 v4, s15
	v_add_co_u32_e32 v18, vcc, s14, v0
	v_addc_co_u32_e32 v19, vcc, v4, v1, vcc
	v_mov_b32_e32 v4, s33
	v_add_co_u32_e32 v0, vcc, s76, v0
	v_addc_co_u32_e32 v1, vcc, v1, v4, vcc
	v_cmp_le_i64_e32 vcc, s[56:57], v[0:1]
	v_mov_b32_e32 v4, s17
	s_or_b64 s[2:3], vcc, s[2:3]
	v_add_co_u32_e32 v2, vcc, s16, v2
	v_addc_co_u32_e32 v3, vcc, v3, v4, vcc
	global_store_byte v[18:19], v13, off
	s_andn2_b64 exec, exec, s[2:3]
	s_cbranch_execz .LBB4_164
.LBB4_148:                              ; =>This Inner Loop Header: Depth=1
	v_add_co_u32_e32 v12, vcc, v2, v8
	v_addc_co_u32_e32 v13, vcc, v3, v9, vcc
	global_load_ushort v4, v[12:13], off
	v_add_co_u32_e32 v12, vcc, v2, v6
	v_addc_co_u32_e32 v13, vcc, v3, v7, vcc
	global_load_ushort v12, v[12:13], off
	s_waitcnt vmcnt(1)
	v_lshlrev_b32_e32 v4, 16, v4
	v_xor_b32_e32 v13, 0x80000000, v4
	v_bfe_u32 v17, v13, 16, 1
	v_add3_u32 v13, v13, v17, s18
	v_and_b32_e32 v13, 0xffff0000, v13
	v_cmp_o_f32_e32 vcc, v4, v4
	v_cndmask_b32_e32 v13, v11, v13, vcc
	v_mul_f32_e32 v17, 0x3fb8aa3b, v13
	v_fma_f32 v18, v13, s19, -v17
	v_rndne_f32_e32 v19, v17
	v_fmac_f32_e32 v18, 0x32a5705f, v13
	v_sub_f32_e32 v17, v17, v19
	v_add_f32_e32 v17, v17, v18
	v_cvt_i32_f32_e32 v20, v19
	v_exp_f32_e32 v17, v17
	v_cmp_ngt_f32_e32 vcc, s20, v13
	s_waitcnt vmcnt(0)
	v_lshlrev_b32_e32 v12, 16, v12
	v_mov_b32_e32 v19, v5
	v_ldexp_f32 v17, v17, v20
	v_cndmask_b32_e32 v17, 0, v17, vcc
	v_cmp_nlt_f32_e32 vcc, s21, v13
	v_cndmask_b32_e32 v13, v14, v17, vcc
	v_add_f32_e32 v13, 1.0, v13
	v_div_scale_f32 v17, s[0:1], v13, v13, v4
	v_rcp_f32_e32 v18, v17
	v_div_scale_f32 v20, vcc, v4, v13, v4
	v_fma_f32 v21, -v17, v18, 1.0
	v_fmac_f32_e32 v18, v21, v18
	v_mul_f32_e32 v21, v20, v18
	v_fma_f32 v22, -v17, v21, v20
	v_fmac_f32_e32 v21, v22, v18
	v_fma_f32 v17, -v17, v21, v20
	v_div_fmas_f32 v17, v17, v18, v21
	v_div_fixup_f32 v4, v17, v13, v4
	v_bfe_u32 v13, v4, 16, 1
	v_add3_u32 v13, v4, v13, s18
	v_and_b32_e32 v13, 0xffff0000, v13
	v_cmp_o_f32_e32 vcc, v4, v4
	v_cndmask_b32_e32 v4, v11, v13, vcc
	v_mul_f32_e32 v4, v4, v12
	v_bfe_u32 v12, v4, 16, 1
	v_add3_u32 v12, v4, v12, s18
	v_and_b32_e32 v12, 0xffff0000, v12
	v_cmp_o_f32_e32 vcc, v4, v4
	v_cndmask_b32_e32 v4, v11, v12, vcc
	v_mul_f32_e32 v4, v10, v4
	v_min_f32_e32 v4, 0x43e00000, v4
	v_max_f32_e32 v12, 0xc3e00000, v4
	v_and_b32_sdwa v17, v12, s22 dst_sel:DWORD dst_unused:UNUSED_PAD src0_sel:BYTE_3 src1_sel:DWORD
	v_and_b32_e32 v18, 0x7f800000, v12
	v_and_b32_e32 v4, 0x7fffff, v12
	v_or_b32_e32 v13, 0x7e, v17
	v_cmp_ne_u64_e32 vcc, s[4:5], v[18:19]
	s_and_saveexec_b64 s[0:1], vcc
	s_xor_b64 s[8:9], exec, s[0:1]
	s_cbranch_execz .LBB4_162
; %bb.149:                              ;   in Loop: Header=BB4_148 Depth=1
	v_and_b32_e32 v18, 0x7fffffff, v12
	v_mov_b32_e32 v19, v5
	v_cmp_gt_u64_e32 vcc, s[6:7], v[18:19]
	s_and_saveexec_b64 s[0:1], vcc
	s_xor_b64 s[10:11], exec, s[0:1]
	s_cbranch_execz .LBB4_161
; %bb.150:                              ;   in Loop: Header=BB4_148 Depth=1
	v_cmp_ne_u32_e32 vcc, 0, v12
	v_mov_b32_e32 v13, 0
	s_and_saveexec_b64 s[12:13], vcc
	s_cbranch_execz .LBB4_160
; %bb.151:                              ;   in Loop: Header=BB4_148 Depth=1
	v_bfe_u32 v12, v12, 23, 8
	v_sub_u32_e64 v13, s23, v12 clamp
	v_cmp_eq_u32_e32 vcc, 0, v12
	v_cndmask_b32_e32 v21, v13, v15, vcc
	v_add_u32_e32 v20, 0xffffff88, v12
	v_add_u32_e32 v12, 20, v21
	v_or_b32_e32 v18, 0x800000, v4
	v_lshlrev_b64 v[12:13], v12, -1
	v_cndmask_b32_e32 v4, v18, v4, vcc
	v_not_b32_e32 v13, v13
	v_not_b32_e32 v12, v12
	v_add_u32_e32 v18, 19, v21
	v_and_b32_e32 v13, 0, v13
	v_and_b32_e32 v12, v4, v12
	v_lshlrev_b64 v[18:19], v18, 1
	v_cmp_eq_u64_e64 s[0:1], v[12:13], v[18:19]
	v_lshrrev_b64 v[12:13], v21, v[4:5]
	v_cndmask_b32_e32 v4, v20, v16, vcc
	v_lshrrev_b32_e32 v18, 23, v12
	v_add3_u32 v18, v4, v21, v18
	v_and_b32_e32 v4, 0x100000, v12
	v_cmp_eq_u64_e32 vcc, 0, v[4:5]
	s_and_b64 vcc, vcc, s[0:1]
	v_subbrev_co_u32_e32 v4, vcc, 0, v12, vcc
	v_and_b32_e32 v4, 0xfffff, v4
	v_add_co_u32_e32 v12, vcc, v4, v12
	v_add_u32_e32 v19, -1, v18
	v_addc_co_u32_e32 v13, vcc, 0, v13, vcc
	v_cmp_ne_u32_e32 vcc, 0, v19
                                        ; implicit-def: $vgpr4
	s_and_saveexec_b64 s[0:1], vcc
	s_xor_b64 s[0:1], exec, s[0:1]
; %bb.152:                              ;   in Loop: Header=BB4_148 Depth=1
	v_and_b32_e32 v4, 0x1000000, v12
	v_cmp_eq_u64_e32 vcc, 0, v[4:5]
	v_cndmask_b32_e32 v4, v18, v19, vcc
	v_bfe_u32 v18, v12, 24, 1
	v_lshrrev_b64 v[12:13], v18, v[12:13]
; %bb.153:                              ;   in Loop: Header=BB4_148 Depth=1
	s_andn2_saveexec_b64 s[0:1], s[0:1]
; %bb.154:                              ;   in Loop: Header=BB4_148 Depth=1
	v_bfe_u32 v4, v12, 23, 1
; %bb.155:                              ;   in Loop: Header=BB4_148 Depth=1
	s_or_b64 exec, exec, s[0:1]
	v_lshrrev_b64 v[12:13], 20, v[12:13]
	v_cmp_gt_i32_e32 vcc, 16, v4
	v_cndmask_b32_e32 v13, 0, v13, vcc
	v_cndmask_b32_e32 v12, 7, v12, vcc
	v_cmp_ne_u32_e32 vcc, 0, v4
	v_cmp_ne_u64_e64 s[0:1], 0, v[12:13]
	s_or_b64 s[0:1], vcc, s[0:1]
                                        ; implicit-def: $vgpr13
	s_and_saveexec_b64 s[26:27], s[0:1]
	s_xor_b64 s[0:1], exec, s[26:27]
; %bb.156:                              ;   in Loop: Header=BB4_148 Depth=1
	v_min_i32_e32 v4, 15, v4
	v_lshl_or_b32 v4, v4, 3, v17
	v_and_or_b32 v13, v12, 7, v4
                                        ; implicit-def: $vgpr17
; %bb.157:                              ;   in Loop: Header=BB4_148 Depth=1
	s_andn2_saveexec_b64 s[0:1], s[0:1]
; %bb.158:                              ;   in Loop: Header=BB4_148 Depth=1
	v_mov_b32_e32 v13, v17
; %bb.159:                              ;   in Loop: Header=BB4_148 Depth=1
	s_or_b64 exec, exec, s[0:1]
.LBB4_160:                              ;   in Loop: Header=BB4_148 Depth=1
	s_or_b64 exec, exec, s[12:13]
.LBB4_161:                              ;   in Loop: Header=BB4_148 Depth=1
	s_andn2_saveexec_b64 s[0:1], s[10:11]
	s_or_b64 exec, exec, s[0:1]
                                        ; implicit-def: $vgpr12
.LBB4_162:                              ;   in Loop: Header=BB4_148 Depth=1
	s_andn2_saveexec_b64 s[0:1], s[8:9]
	s_cbranch_execz .LBB4_147
; %bb.163:                              ;   in Loop: Header=BB4_148 Depth=1
	v_or_b32_sdwa v12, v12, s24 dst_sel:DWORD dst_unused:UNUSED_PAD src0_sel:BYTE_3 src1_sel:DWORD
	v_cmp_eq_u64_e32 vcc, 0, v[4:5]
	v_cndmask_b32_e32 v13, v12, v13, vcc
	s_branch .LBB4_147
.LBB4_164:
	s_endpgm
	.section	.rodata,"a",@progbits
	.p2align	6, 0x0
	.amdhsa_kernel _ZN4vllm24act_and_mul_quant_kernelIN3c108BFloat16ETnPFT_RKS3_EXadL_ZNS_11silu_kernelIS2_EES3_S5_EENS1_13Float8_e4m3fnEEEvPT1_PS4_PKfi
		.amdhsa_group_segment_fixed_size 0
		.amdhsa_private_segment_fixed_size 0
		.amdhsa_kernarg_size 288
		.amdhsa_user_sgpr_count 6
		.amdhsa_user_sgpr_private_segment_buffer 1
		.amdhsa_user_sgpr_dispatch_ptr 0
		.amdhsa_user_sgpr_queue_ptr 0
		.amdhsa_user_sgpr_kernarg_segment_ptr 1
		.amdhsa_user_sgpr_dispatch_id 0
		.amdhsa_user_sgpr_flat_scratch_init 0
		.amdhsa_user_sgpr_kernarg_preload_length 0
		.amdhsa_user_sgpr_kernarg_preload_offset 0
		.amdhsa_user_sgpr_private_segment_size 0
		.amdhsa_uses_dynamic_stack 0
		.amdhsa_system_sgpr_private_segment_wavefront_offset 0
		.amdhsa_system_sgpr_workgroup_id_x 1
		.amdhsa_system_sgpr_workgroup_id_y 1
		.amdhsa_system_sgpr_workgroup_id_z 0
		.amdhsa_system_sgpr_workgroup_info 0
		.amdhsa_system_vgpr_workitem_id 0
		.amdhsa_next_free_vgpr 66
		.amdhsa_next_free_sgpr 86
		.amdhsa_accum_offset 68
		.amdhsa_reserve_vcc 1
		.amdhsa_reserve_flat_scratch 0
		.amdhsa_float_round_mode_32 0
		.amdhsa_float_round_mode_16_64 0
		.amdhsa_float_denorm_mode_32 3
		.amdhsa_float_denorm_mode_16_64 3
		.amdhsa_dx10_clamp 1
		.amdhsa_ieee_mode 1
		.amdhsa_fp16_overflow 0
		.amdhsa_tg_split 0
		.amdhsa_exception_fp_ieee_invalid_op 0
		.amdhsa_exception_fp_denorm_src 0
		.amdhsa_exception_fp_ieee_div_zero 0
		.amdhsa_exception_fp_ieee_overflow 0
		.amdhsa_exception_fp_ieee_underflow 0
		.amdhsa_exception_fp_ieee_inexact 0
		.amdhsa_exception_int_div_zero 0
	.end_amdhsa_kernel
	.section	.text._ZN4vllm24act_and_mul_quant_kernelIN3c108BFloat16ETnPFT_RKS3_EXadL_ZNS_11silu_kernelIS2_EES3_S5_EENS1_13Float8_e4m3fnEEEvPT1_PS4_PKfi,"axG",@progbits,_ZN4vllm24act_and_mul_quant_kernelIN3c108BFloat16ETnPFT_RKS3_EXadL_ZNS_11silu_kernelIS2_EES3_S5_EENS1_13Float8_e4m3fnEEEvPT1_PS4_PKfi,comdat
.Lfunc_end4:
	.size	_ZN4vllm24act_and_mul_quant_kernelIN3c108BFloat16ETnPFT_RKS3_EXadL_ZNS_11silu_kernelIS2_EES3_S5_EENS1_13Float8_e4m3fnEEEvPT1_PS4_PKfi, .Lfunc_end4-_ZN4vllm24act_and_mul_quant_kernelIN3c108BFloat16ETnPFT_RKS3_EXadL_ZNS_11silu_kernelIS2_EES3_S5_EENS1_13Float8_e4m3fnEEEvPT1_PS4_PKfi
                                        ; -- End function
	.section	.AMDGPU.csdata,"",@progbits
; Kernel info:
; codeLenInByte = 12084
; NumSgprs: 90
; NumVgprs: 66
; NumAgprs: 0
; TotalNumVgprs: 66
; ScratchSize: 0
; MemoryBound: 0
; FloatMode: 240
; IeeeMode: 1
; LDSByteSize: 0 bytes/workgroup (compile time only)
; SGPRBlocks: 11
; VGPRBlocks: 8
; NumSGPRsForWavesPerEU: 90
; NumVGPRsForWavesPerEU: 66
; AccumOffset: 68
; Occupancy: 7
; WaveLimiterHint : 0
; COMPUTE_PGM_RSRC2:SCRATCH_EN: 0
; COMPUTE_PGM_RSRC2:USER_SGPR: 6
; COMPUTE_PGM_RSRC2:TRAP_HANDLER: 0
; COMPUTE_PGM_RSRC2:TGID_X_EN: 1
; COMPUTE_PGM_RSRC2:TGID_Y_EN: 1
; COMPUTE_PGM_RSRC2:TGID_Z_EN: 0
; COMPUTE_PGM_RSRC2:TIDIG_COMP_CNT: 0
; COMPUTE_PGM_RSRC3_GFX90A:ACCUM_OFFSET: 16
; COMPUTE_PGM_RSRC3_GFX90A:TG_SPLIT: 0
	.section	.text._ZN4vllm24act_and_mul_quant_kernelIN3c108BFloat16ETnPFT_RKS3_EXadL_ZNS_11silu_kernelIS2_EES3_S5_EENS1_15Float8_e4m3fnuzEEEvPT1_PS4_PKfi,"axG",@progbits,_ZN4vllm24act_and_mul_quant_kernelIN3c108BFloat16ETnPFT_RKS3_EXadL_ZNS_11silu_kernelIS2_EES3_S5_EENS1_15Float8_e4m3fnuzEEEvPT1_PS4_PKfi,comdat
	.protected	_ZN4vllm24act_and_mul_quant_kernelIN3c108BFloat16ETnPFT_RKS3_EXadL_ZNS_11silu_kernelIS2_EES3_S5_EENS1_15Float8_e4m3fnuzEEEvPT1_PS4_PKfi ; -- Begin function _ZN4vllm24act_and_mul_quant_kernelIN3c108BFloat16ETnPFT_RKS3_EXadL_ZNS_11silu_kernelIS2_EES3_S5_EENS1_15Float8_e4m3fnuzEEEvPT1_PS4_PKfi
	.globl	_ZN4vllm24act_and_mul_quant_kernelIN3c108BFloat16ETnPFT_RKS3_EXadL_ZNS_11silu_kernelIS2_EES3_S5_EENS1_15Float8_e4m3fnuzEEEvPT1_PS4_PKfi
	.p2align	8
	.type	_ZN4vllm24act_and_mul_quant_kernelIN3c108BFloat16ETnPFT_RKS3_EXadL_ZNS_11silu_kernelIS2_EES3_S5_EENS1_15Float8_e4m3fnuzEEEvPT1_PS4_PKfi,@function
_ZN4vllm24act_and_mul_quant_kernelIN3c108BFloat16ETnPFT_RKS3_EXadL_ZNS_11silu_kernelIS2_EES3_S5_EENS1_15Float8_e4m3fnuzEEEvPT1_PS4_PKfi: ; @_ZN4vllm24act_and_mul_quant_kernelIN3c108BFloat16ETnPFT_RKS3_EXadL_ZNS_11silu_kernelIS2_EES3_S5_EENS1_15Float8_e4m3fnuzEEEvPT1_PS4_PKfi
; %bb.0:
	s_load_dword s1, s[4:5], 0x24
	s_load_dword s22, s[4:5], 0x18
	s_add_u32 s2, s4, 32
	s_mov_b32 s0, s7
	s_addc_u32 s3, s5, 0
	s_waitcnt lgkmcnt(0)
	s_abs_i32 s7, s1
	v_cvt_f32_u32_e32 v1, s7
	s_sub_i32 s9, 0, s7
	s_add_i32 s8, s22, s1
	s_add_i32 s8, s8, -1
	v_rcp_iflag_f32_e32 v1, v1
	s_xor_b32 s1, s8, s1
	s_abs_i32 s8, s8
	s_ashr_i32 s1, s1, 31
	v_mul_f32_e32 v1, 0x4f7ffffe, v1
	v_cvt_u32_f32_e32 v1, v1
	s_load_dwordx4 s[40:43], s[4:5], 0x0
	v_readfirstlane_b32 s10, v1
	s_mul_i32 s9, s9, s10
	s_mul_hi_u32 s9, s10, s9
	s_add_i32 s10, s10, s9
	s_mul_hi_u32 s9, s8, s10
	s_mul_i32 s10, s9, s7
	s_sub_i32 s8, s8, s10
	s_add_i32 s10, s9, 1
	s_sub_i32 s11, s8, s7
	s_cmp_ge_u32 s8, s7
	s_cselect_b32 s9, s10, s9
	s_cselect_b32 s8, s11, s8
	s_add_i32 s10, s9, 1
	s_cmp_ge_u32 s8, s7
	s_cselect_b32 s7, s10, s9
	s_xor_b32 s7, s7, s1
	s_sub_i32 s1, s7, s1
	s_and_b32 s7, s1, 7
	s_cmp_eq_u32 s7, 0
	s_mov_b32 s7, 0
	s_cbranch_scc1 .LBB5_2
; %bb.1:
	s_ashr_i32 s8, s1, 31
	s_lshr_b32 s8, s8, 29
	s_add_i32 s1, s1, s8
	s_and_b32 s1, s1, -8
	s_add_i32 s1, s1, 8
.LBB5_2:
	s_mul_i32 s8, s1, s0
	s_add_i32 s0, s8, s1
	s_min_i32 s44, s0, s22
	s_abs_i32 s9, s44
	v_cvt_f32_u32_e32 v1, s9
	s_load_dwordx2 s[0:1], s[4:5], 0x10
	s_ashr_i32 s23, s22, 31
	s_mul_hi_u32 s4, s22, s6
	v_rcp_iflag_f32_e32 v1, v1
	s_mul_i32 s5, s23, s6
	s_add_i32 s47, s4, s5
	s_sub_i32 s4, 0, s9
	v_mul_f32_e32 v1, 0x4f7ffffe, v1
	v_cvt_u32_f32_e32 v1, v1
	s_waitcnt lgkmcnt(0)
	s_load_dword s5, s[0:1], 0x0
	s_mul_i32 s46, s22, s6
	v_readfirstlane_b32 s0, v1
	s_mul_i32 s4, s4, s0
	s_mul_hi_u32 s1, s0, s4
	s_add_i32 s0, s0, s1
	s_lshr_b32 s0, s0, 29
	s_mul_i32 s0, s0, s9
	s_sub_i32 s0, 8, s0
	s_sub_i32 s1, s0, s9
	s_cmp_ge_u32 s0, s9
	s_cselect_b32 s0, s1, s0
	s_sub_i32 s1, s0, s9
	s_cmp_ge_u32 s0, s9
	s_cselect_b32 s24, s1, s0
	s_cmp_eq_u32 s24, 0
	s_cselect_b64 s[0:1], -1, 0
	v_cndmask_b32_e64 v11, 0, 1, s[0:1]
	s_waitcnt lgkmcnt(0)
	v_div_scale_f32 v1, s[0:1], s5, s5, 1.0
	v_rcp_f32_e32 v2, v1
	s_ashr_i32 s4, s8, 31
	s_lshr_b32 s0, s4, 29
	s_add_i32 s8, s8, s0
	v_fma_f32 v3, -v1, v2, 1.0
	v_fmac_f32_e32 v2, v3, v2
	v_div_scale_f32 v3, vcc, 1.0, s5, 1.0
	v_mul_f32_e32 v4, v3, v2
	v_fma_f32 v5, -v1, v4, v3
	v_fmac_f32_e32 v4, v5, v2
	s_ashr_i32 s0, s8, 3
	v_fma_f32 v1, -v1, v4, v3
	v_div_fmas_f32 v1, v1, v2, v4
	v_add_u32_e32 v13, s0, v0
	v_div_fixup_f32 v10, v1, s5, 1.0
	v_cmp_lt_i32_e32 vcc, v13, v11
	s_and_saveexec_b64 s[4:5], vcc
	s_cbranch_execz .LBB5_85
; %bb.3:
	s_load_dword s1, s[2:3], 0xc
	s_ashr_i32 s10, s0, 31
	v_add_co_u32_e32 v2, vcc, s0, v0
	v_mov_b32_e32 v1, s10
	s_waitcnt lgkmcnt(0)
	s_and_b32 s26, s1, 0xffff
	s_lshl_b64 s[0:1], s[6:7], 2
	s_or_b32 s0, s0, 2
	s_mul_i32 s10, s0, s23
	s_mul_hi_u32 s11, s0, s22
	v_addc_co_u32_e32 v3, vcc, 0, v1, vcc
	s_add_i32 s10, s11, s10
	s_mul_i32 s1, s1, s22
	s_lshl_b64 s[8:9], s[46:47], 2
	v_lshlrev_b64 v[4:5], 4, v[2:3]
	s_lshl_b32 s27, s26, 4
	s_add_i32 s1, s10, s1
	v_mov_b32_e32 v1, s43
	v_add_co_u32_e32 v12, vcc, s42, v4
	s_mul_i32 s28, s0, s22
	s_add_u32 s0, s40, s46
	v_addc_co_u32_e32 v1, vcc, v1, v5, vcc
	v_lshlrev_b64 v[2:3], 3, v[2:3]
	s_addc_u32 s10, s41, s47
	s_mov_b32 s25, 0
	v_mov_b32_e32 v4, s10
	v_add_co_u32_e32 v14, vcc, s0, v2
	v_addc_co_u32_e32 v15, vcc, v4, v3, vcc
	s_lshl_b32 s29, s26, 3
	s_mov_b32 s30, s25
	s_mov_b64 s[10:11], 0
	v_mov_b32_e32 v28, s9
	v_mov_b32_e32 v29, s1
	s_movk_i32 s9, 0x7fff
	v_mov_b32_e32 v30, 0x7fc00000
	s_mov_b32 s31, 0x3fb8aa3b
	s_mov_b32 s33, 0xc2ce8ed0
	;; [unrolled: 1-line block ×3, first 2 shown]
	v_mov_b32_e32 v31, 0x7f800000
	v_mov_b32_e32 v17, 0
	s_movk_i32 s35, 0x7f
	s_mov_b64 s[12:13], 0x7f800000
	s_mov_b64 s[14:15], 0x43700001
	s_movk_i32 s36, 0x78
	s_movk_i32 s37, 0x80
	s_mov_b32 s38, 0xff00
	s_mov_b32 s39, 0x4020c0c
	v_mov_b32_e32 v32, 0x77
	v_mov_b32_e32 v33, 0xffffff8a
	s_branch .LBB5_8
.LBB5_4:                                ;   in Loop: Header=BB5_8 Depth=1
	s_or_b64 exec, exec, s[0:1]
	v_lshrrev_b64 v[4:5], 20, v[4:5]
	v_cmp_gt_i32_e32 vcc, 16, v7
	v_and_b32_sdwa v3, v3, s37 dst_sel:DWORD dst_unused:UNUSED_PAD src0_sel:BYTE_3 src1_sel:DWORD
	v_min_i32_e32 v8, 15, v7
	v_cndmask_b32_e32 v5, 0, v5, vcc
	v_cndmask_b32_e32 v4, 7, v4, vcc
	v_cmp_eq_u32_e32 vcc, 0, v7
	v_cmp_eq_u64_e64 s[0:1], 0, v[4:5]
	v_lshl_or_b32 v3, v8, 3, v3
	v_and_or_b32 v3, v4, 7, v3
	s_and_b64 s[0:1], vcc, s[0:1]
	v_cndmask_b32_e64 v4, v3, 0, s[0:1]
.LBB5_5:                                ;   in Loop: Header=BB5_8 Depth=1
	s_or_b64 exec, exec, s[20:21]
.LBB5_6:                                ;   in Loop: Header=BB5_8 Depth=1
	s_andn2_saveexec_b64 s[0:1], s[18:19]
	s_or_b64 exec, exec, s[0:1]
.LBB5_7:                                ;   in Loop: Header=BB5_8 Depth=1
	s_andn2_saveexec_b64 s[0:1], s[16:17]
	s_or_b64 exec, exec, s[0:1]
	v_lshlrev_b32_e32 v3, 24, v4
	v_lshlrev_b32_e32 v4, 16, v26
	v_and_b32_e32 v4, 0xff0000, v4
	v_or_b32_e32 v3, v3, v4
	v_lshlrev_b32_e32 v4, 8, v24
	v_and_b32_e32 v4, 0xff00, v4
	v_and_b32_e32 v5, 0xff, v6
	v_or3_b32 v3, v3, v4, v5
	v_lshlrev_b32_e32 v4, 16, v22
	v_lshlrev_b32_e32 v5, 8, v20
	v_perm_b32 v2, v2, v4, s39
	v_and_or_b32 v2, v5, s38, v2
	v_or_b32_sdwa v2, v2, v18 dst_sel:DWORD dst_unused:UNUSED_PAD src0_sel:DWORD src1_sel:BYTE_0
	global_store_dwordx2 v[14:15], v[2:3], off
	v_mov_b32_e32 v2, s25
	v_add_co_u32_e32 v12, vcc, s27, v12
	v_add_u32_e32 v13, s26, v13
	v_addc_co_u32_e32 v1, vcc, v1, v2, vcc
	v_cmp_ge_i32_e32 vcc, v13, v11
	v_mov_b32_e32 v2, s30
	s_or_b64 s[10:11], vcc, s[10:11]
	v_add_co_u32_e32 v14, vcc, s29, v14
	v_addc_co_u32_e32 v15, vcc, v15, v2, vcc
	s_andn2_b64 exec, exec, s[10:11]
	s_cbranch_execz .LBB5_85
.LBB5_8:                                ; =>This Inner Loop Header: Depth=1
	v_add_co_u32_e32 v2, vcc, s8, v12
	v_addc_co_u32_e32 v3, vcc, v1, v28, vcc
	global_load_dwordx4 v[6:9], v[2:3], off
	v_add_co_u32_e32 v2, vcc, s28, v12
	v_addc_co_u32_e32 v3, vcc, v1, v29, vcc
	global_load_dwordx4 v[2:5], v[2:3], off
	s_waitcnt vmcnt(1)
	v_lshlrev_b32_e32 v16, 16, v6
	v_xor_b32_e32 v18, 0x80000000, v16
	v_bfe_u32 v19, v18, 16, 1
	v_add3_u32 v18, v18, v19, s9
	v_and_b32_e32 v18, 0xffff0000, v18
	v_cmp_o_f32_e32 vcc, v16, v16
	v_cndmask_b32_e32 v18, v30, v18, vcc
	v_mul_f32_e32 v19, 0x3fb8aa3b, v18
	v_fma_f32 v20, v18, s31, -v19
	v_rndne_f32_e32 v21, v19
	v_fmac_f32_e32 v20, 0x32a5705f, v18
	v_sub_f32_e32 v19, v19, v21
	v_add_f32_e32 v19, v19, v20
	v_cvt_i32_f32_e32 v21, v21
	v_exp_f32_e32 v19, v19
	v_cmp_ngt_f32_e32 vcc, s33, v18
	v_ldexp_f32 v19, v19, v21
	v_cndmask_b32_e32 v19, 0, v19, vcc
	v_cmp_nlt_f32_e32 vcc, s34, v18
	v_cndmask_b32_e32 v18, v31, v19, vcc
	v_add_f32_e32 v18, 1.0, v18
	v_div_scale_f32 v19, s[0:1], v18, v18, v16
	v_rcp_f32_e32 v20, v19
	v_div_scale_f32 v22, vcc, v16, v18, v16
	s_waitcnt vmcnt(0)
	v_lshlrev_b32_e32 v21, 16, v2
	v_fma_f32 v23, -v19, v20, 1.0
	v_fmac_f32_e32 v20, v23, v20
	v_mul_f32_e32 v23, v22, v20
	v_fma_f32 v24, -v19, v23, v22
	v_fmac_f32_e32 v23, v24, v20
	v_fma_f32 v19, -v19, v23, v22
	v_div_fmas_f32 v19, v19, v20, v23
	v_div_fixup_f32 v16, v19, v18, v16
	v_bfe_u32 v18, v16, 16, 1
	v_add3_u32 v18, v16, v18, s9
	v_and_b32_e32 v18, 0xffff0000, v18
	v_cmp_o_f32_e32 vcc, v16, v16
	v_cndmask_b32_e32 v16, v30, v18, vcc
	v_mul_f32_e32 v16, v16, v21
	v_bfe_u32 v18, v16, 16, 1
	v_add3_u32 v18, v16, v18, s9
	v_and_b32_e32 v18, 0xffff0000, v18
	v_cmp_o_f32_e32 vcc, v16, v16
	v_cndmask_b32_e32 v16, v30, v18, vcc
	v_mul_f32_e32 v16, v10, v16
	v_min_f32_e32 v16, 0x43600000, v16
	v_max_f32_e32 v20, 0xc3600000, v16
	v_and_b32_e32 v16, 0x7f800000, v20
	v_or_b32_sdwa v18, v20, s35 dst_sel:DWORD dst_unused:UNUSED_PAD src0_sel:BYTE_3 src1_sel:DWORD
	v_cmp_ne_u64_e32 vcc, s[12:13], v[16:17]
	s_and_saveexec_b64 s[0:1], vcc
	s_xor_b64 s[16:17], exec, s[0:1]
	s_cbranch_execz .LBB5_18
; %bb.9:                                ;   in Loop: Header=BB5_8 Depth=1
	v_and_b32_e32 v16, 0x7fffffff, v20
	v_cmp_gt_u64_e32 vcc, s[14:15], v[16:17]
	s_and_saveexec_b64 s[0:1], vcc
	s_xor_b64 s[18:19], exec, s[0:1]
	s_cbranch_execz .LBB5_17
; %bb.10:                               ;   in Loop: Header=BB5_8 Depth=1
	v_cmp_ne_u32_e32 vcc, 0, v20
	v_pk_mov_b32 v[18:19], 0, 0
	s_and_saveexec_b64 s[20:21], vcc
	s_cbranch_execz .LBB5_16
; %bb.11:                               ;   in Loop: Header=BB5_8 Depth=1
	v_bfe_u32 v18, v20, 23, 8
	v_sub_u32_e64 v19, s36, v18 clamp
	v_cmp_eq_u32_e32 vcc, 0, v18
	v_cndmask_b32_e32 v25, v19, v32, vcc
	v_and_b32_e32 v16, 0x7fffff, v20
	v_add_u32_e32 v24, 0xffffff89, v18
	v_add_u32_e32 v18, 20, v25
	v_or_b32_e32 v21, 0x800000, v16
	v_lshlrev_b64 v[18:19], v18, -1
	v_cndmask_b32_e32 v16, v21, v16, vcc
	v_not_b32_e32 v18, v18
	v_add_u32_e32 v21, 19, v25
	v_and_b32_e32 v18, v16, v18
	v_mov_b32_e32 v19, v17
	v_lshlrev_b64 v[22:23], v21, 1
	v_cmp_eq_u64_e64 s[0:1], v[18:19], v[22:23]
	v_lshrrev_b64 v[18:19], v25, v[16:17]
	v_cndmask_b32_e32 v16, v24, v33, vcc
	v_lshrrev_b32_e32 v21, 23, v18
	v_add3_u32 v21, v16, v25, v21
	v_and_b32_e32 v16, 0x100000, v18
	v_cmp_eq_u64_e32 vcc, 0, v[16:17]
	s_and_b64 vcc, vcc, s[0:1]
	v_subbrev_co_u32_e32 v16, vcc, 0, v18, vcc
	v_and_b32_e32 v16, 0xfffff, v16
	v_add_co_u32_e32 v18, vcc, v16, v18
	v_add_u32_e32 v22, -1, v21
	v_addc_co_u32_e32 v19, vcc, 0, v19, vcc
	v_cmp_ne_u32_e32 vcc, 0, v22
                                        ; implicit-def: $vgpr16
	s_and_saveexec_b64 s[0:1], vcc
	s_xor_b64 s[0:1], exec, s[0:1]
; %bb.12:                               ;   in Loop: Header=BB5_8 Depth=1
	v_and_b32_e32 v16, 0x1000000, v18
	v_cmp_eq_u64_e32 vcc, 0, v[16:17]
	v_cndmask_b32_e32 v16, v21, v22, vcc
	v_bfe_u32 v21, v18, 24, 1
	v_lshrrev_b64 v[18:19], v21, v[18:19]
; %bb.13:                               ;   in Loop: Header=BB5_8 Depth=1
	s_andn2_saveexec_b64 s[0:1], s[0:1]
; %bb.14:                               ;   in Loop: Header=BB5_8 Depth=1
	v_bfe_u32 v16, v18, 23, 1
; %bb.15:                               ;   in Loop: Header=BB5_8 Depth=1
	s_or_b64 exec, exec, s[0:1]
	v_lshrrev_b64 v[18:19], 20, v[18:19]
	v_cmp_gt_i32_e32 vcc, 16, v16
	v_and_b32_sdwa v20, v20, s37 dst_sel:DWORD dst_unused:UNUSED_PAD src0_sel:BYTE_3 src1_sel:DWORD
	v_min_i32_e32 v21, 15, v16
	v_cndmask_b32_e32 v19, 0, v19, vcc
	v_cndmask_b32_e32 v18, 7, v18, vcc
	v_cmp_eq_u32_e32 vcc, 0, v16
	v_cmp_eq_u64_e64 s[0:1], 0, v[18:19]
	v_lshl_or_b32 v16, v21, 3, v20
	v_and_or_b32 v16, v18, 7, v16
	s_and_b64 s[0:1], vcc, s[0:1]
	v_cndmask_b32_e64 v18, v16, 0, s[0:1]
.LBB5_16:                               ;   in Loop: Header=BB5_8 Depth=1
	s_or_b64 exec, exec, s[20:21]
.LBB5_17:                               ;   in Loop: Header=BB5_8 Depth=1
	s_andn2_saveexec_b64 s[0:1], s[18:19]
	s_or_b64 exec, exec, s[0:1]
.LBB5_18:                               ;   in Loop: Header=BB5_8 Depth=1
	s_andn2_saveexec_b64 s[0:1], s[16:17]
	s_or_b64 exec, exec, s[0:1]
	v_and_b32_e32 v6, 0xffff0000, v6
	v_xor_b32_e32 v16, 0x80000000, v6
	v_bfe_u32 v19, v16, 16, 1
	v_add3_u32 v16, v16, v19, s9
	v_and_b32_e32 v16, 0xffff0000, v16
	v_cmp_o_f32_e32 vcc, v6, v6
	v_cndmask_b32_e32 v16, v30, v16, vcc
	v_mul_f32_e32 v19, 0x3fb8aa3b, v16
	v_fma_f32 v20, v16, s31, -v19
	v_rndne_f32_e32 v21, v19
	v_fmac_f32_e32 v20, 0x32a5705f, v16
	v_sub_f32_e32 v19, v19, v21
	v_add_f32_e32 v19, v19, v20
	v_exp_f32_e32 v19, v19
	v_cvt_i32_f32_e32 v20, v21
	v_cmp_ngt_f32_e32 vcc, s33, v16
	v_and_b32_e32 v2, 0xffff0000, v2
	v_ldexp_f32 v19, v19, v20
	v_cndmask_b32_e32 v19, 0, v19, vcc
	v_cmp_nlt_f32_e32 vcc, s34, v16
	v_cndmask_b32_e32 v16, v31, v19, vcc
	v_add_f32_e32 v16, 1.0, v16
	v_div_scale_f32 v19, s[0:1], v16, v16, v6
	v_rcp_f32_e32 v20, v19
	v_fma_f32 v21, -v19, v20, 1.0
	v_fmac_f32_e32 v20, v21, v20
	v_div_scale_f32 v21, vcc, v6, v16, v6
	v_mul_f32_e32 v22, v21, v20
	v_fma_f32 v23, -v19, v22, v21
	v_fmac_f32_e32 v22, v23, v20
	v_fma_f32 v19, -v19, v22, v21
	v_div_fmas_f32 v19, v19, v20, v22
	v_div_fixup_f32 v6, v19, v16, v6
	v_bfe_u32 v16, v6, 16, 1
	v_add3_u32 v16, v6, v16, s9
	v_and_b32_e32 v16, 0xffff0000, v16
	v_cmp_o_f32_e32 vcc, v6, v6
	v_cndmask_b32_e32 v6, v30, v16, vcc
	v_mul_f32_e32 v2, v6, v2
	v_bfe_u32 v6, v2, 16, 1
	v_add3_u32 v6, v2, v6, s9
	v_and_b32_e32 v6, 0xffff0000, v6
	v_cmp_o_f32_e32 vcc, v2, v2
	v_cndmask_b32_e32 v2, v30, v6, vcc
	v_mul_f32_e32 v2, v10, v2
	v_min_f32_e32 v2, 0x43600000, v2
	v_max_f32_e32 v2, 0xc3600000, v2
	v_and_b32_e32 v16, 0x7f800000, v2
	v_or_b32_sdwa v20, v2, s35 dst_sel:DWORD dst_unused:UNUSED_PAD src0_sel:BYTE_3 src1_sel:DWORD
	v_cmp_ne_u64_e32 vcc, s[12:13], v[16:17]
	s_and_saveexec_b64 s[0:1], vcc
	s_xor_b64 s[16:17], exec, s[0:1]
	s_cbranch_execz .LBB5_28
; %bb.19:                               ;   in Loop: Header=BB5_8 Depth=1
	v_and_b32_e32 v16, 0x7fffffff, v2
	v_cmp_gt_u64_e32 vcc, s[14:15], v[16:17]
	s_and_saveexec_b64 s[0:1], vcc
	s_xor_b64 s[18:19], exec, s[0:1]
	s_cbranch_execz .LBB5_27
; %bb.20:                               ;   in Loop: Header=BB5_8 Depth=1
	v_cmp_ne_u32_e32 vcc, 0, v2
	v_pk_mov_b32 v[20:21], 0, 0
	s_and_saveexec_b64 s[20:21], vcc
	s_cbranch_execz .LBB5_26
; %bb.21:                               ;   in Loop: Header=BB5_8 Depth=1
	v_bfe_u32 v16, v2, 23, 8
	v_and_b32_e32 v6, 0x7fffff, v2
	v_sub_u32_e64 v19, s36, v16 clamp
	v_cmp_eq_u32_e32 vcc, 0, v16
	v_or_b32_e32 v20, 0x800000, v6
	v_cndmask_b32_e32 v19, v19, v32, vcc
	v_add_u32_e32 v24, 0xffffff89, v16
	v_cndmask_b32_e32 v16, v20, v6, vcc
	v_add_u32_e32 v6, 20, v19
	v_lshlrev_b64 v[20:21], v6, -1
	v_not_b32_e32 v6, v20
	v_and_b32_e32 v20, v16, v6
	v_add_u32_e32 v6, 19, v19
	v_mov_b32_e32 v21, v17
	v_lshlrev_b64 v[22:23], v6, 1
	v_cmp_eq_u64_e64 s[0:1], v[20:21], v[22:23]
	v_lshrrev_b64 v[20:21], v19, v[16:17]
	v_cndmask_b32_e32 v6, v24, v33, vcc
	v_lshrrev_b32_e32 v16, 23, v20
	v_add3_u32 v19, v6, v19, v16
	v_and_b32_e32 v16, 0x100000, v20
	v_cmp_eq_u64_e32 vcc, 0, v[16:17]
	s_and_b64 vcc, vcc, s[0:1]
	v_subbrev_co_u32_e32 v6, vcc, 0, v20, vcc
	v_and_b32_e32 v6, 0xfffff, v6
	v_add_co_u32_e32 v20, vcc, v6, v20
	v_add_u32_e32 v22, -1, v19
	v_addc_co_u32_e32 v21, vcc, 0, v21, vcc
	v_cmp_ne_u32_e32 vcc, 0, v22
                                        ; implicit-def: $vgpr6
	s_and_saveexec_b64 s[0:1], vcc
	s_xor_b64 s[0:1], exec, s[0:1]
; %bb.22:                               ;   in Loop: Header=BB5_8 Depth=1
	v_and_b32_e32 v16, 0x1000000, v20
	v_cmp_eq_u64_e32 vcc, 0, v[16:17]
	v_bfe_u32 v16, v20, 24, 1
	v_cndmask_b32_e32 v6, v19, v22, vcc
	v_lshrrev_b64 v[20:21], v16, v[20:21]
; %bb.23:                               ;   in Loop: Header=BB5_8 Depth=1
	s_andn2_saveexec_b64 s[0:1], s[0:1]
; %bb.24:                               ;   in Loop: Header=BB5_8 Depth=1
	v_bfe_u32 v6, v20, 23, 1
; %bb.25:                               ;   in Loop: Header=BB5_8 Depth=1
	s_or_b64 exec, exec, s[0:1]
	v_lshrrev_b64 v[20:21], 20, v[20:21]
	v_cmp_gt_i32_e32 vcc, 16, v6
	v_and_b32_sdwa v2, v2, s37 dst_sel:DWORD dst_unused:UNUSED_PAD src0_sel:BYTE_3 src1_sel:DWORD
	v_min_i32_e32 v16, 15, v6
	v_cndmask_b32_e32 v21, 0, v21, vcc
	v_cndmask_b32_e32 v20, 7, v20, vcc
	v_cmp_eq_u32_e32 vcc, 0, v6
	v_cmp_eq_u64_e64 s[0:1], 0, v[20:21]
	v_lshl_or_b32 v2, v16, 3, v2
	v_and_or_b32 v2, v20, 7, v2
	s_and_b64 s[0:1], vcc, s[0:1]
	v_cndmask_b32_e64 v20, v2, 0, s[0:1]
.LBB5_26:                               ;   in Loop: Header=BB5_8 Depth=1
	s_or_b64 exec, exec, s[20:21]
.LBB5_27:                               ;   in Loop: Header=BB5_8 Depth=1
	s_andn2_saveexec_b64 s[0:1], s[18:19]
	s_or_b64 exec, exec, s[0:1]
.LBB5_28:                               ;   in Loop: Header=BB5_8 Depth=1
	s_andn2_saveexec_b64 s[0:1], s[16:17]
	s_or_b64 exec, exec, s[0:1]
	v_lshlrev_b32_e32 v2, 16, v7
	v_xor_b32_e32 v6, 0x80000000, v2
	v_bfe_u32 v16, v6, 16, 1
	v_add3_u32 v6, v6, v16, s9
	v_and_b32_e32 v6, 0xffff0000, v6
	v_cmp_o_f32_e32 vcc, v2, v2
	v_cndmask_b32_e32 v6, v30, v6, vcc
	v_mul_f32_e32 v16, 0x3fb8aa3b, v6
	v_fma_f32 v19, v6, s31, -v16
	v_rndne_f32_e32 v21, v16
	v_fmac_f32_e32 v19, 0x32a5705f, v6
	v_sub_f32_e32 v16, v16, v21
	v_add_f32_e32 v16, v16, v19
	v_exp_f32_e32 v16, v16
	v_cvt_i32_f32_e32 v19, v21
	v_cmp_ngt_f32_e32 vcc, s33, v6
	v_ldexp_f32 v16, v16, v19
	v_cndmask_b32_e32 v16, 0, v16, vcc
	v_cmp_nlt_f32_e32 vcc, s34, v6
	v_cndmask_b32_e32 v6, v31, v16, vcc
	v_add_f32_e32 v6, 1.0, v6
	v_div_scale_f32 v16, s[0:1], v6, v6, v2
	v_rcp_f32_e32 v19, v16
	v_fma_f32 v21, -v16, v19, 1.0
	v_fmac_f32_e32 v19, v21, v19
	v_div_scale_f32 v21, vcc, v2, v6, v2
	v_mul_f32_e32 v22, v21, v19
	v_fma_f32 v23, -v16, v22, v21
	v_fmac_f32_e32 v22, v23, v19
	v_fma_f32 v16, -v16, v22, v21
	v_div_fmas_f32 v16, v16, v19, v22
	v_div_fixup_f32 v2, v16, v6, v2
	v_bfe_u32 v6, v2, 16, 1
	v_add3_u32 v6, v2, v6, s9
	v_and_b32_e32 v6, 0xffff0000, v6
	v_cmp_o_f32_e32 vcc, v2, v2
	v_cndmask_b32_e32 v2, v30, v6, vcc
	v_lshlrev_b32_e32 v6, 16, v3
	v_mul_f32_e32 v2, v2, v6
	v_bfe_u32 v6, v2, 16, 1
	v_add3_u32 v6, v2, v6, s9
	v_and_b32_e32 v6, 0xffff0000, v6
	v_cmp_o_f32_e32 vcc, v2, v2
	v_cndmask_b32_e32 v2, v30, v6, vcc
	v_mul_f32_e32 v2, v10, v2
	v_min_f32_e32 v2, 0x43600000, v2
	v_max_f32_e32 v2, 0xc3600000, v2
	v_and_b32_e32 v16, 0x7f800000, v2
	v_or_b32_sdwa v22, v2, s35 dst_sel:DWORD dst_unused:UNUSED_PAD src0_sel:BYTE_3 src1_sel:DWORD
	v_cmp_ne_u64_e32 vcc, s[12:13], v[16:17]
	s_and_saveexec_b64 s[0:1], vcc
	s_xor_b64 s[16:17], exec, s[0:1]
	s_cbranch_execz .LBB5_38
; %bb.29:                               ;   in Loop: Header=BB5_8 Depth=1
	v_and_b32_e32 v16, 0x7fffffff, v2
	v_cmp_gt_u64_e32 vcc, s[14:15], v[16:17]
	s_and_saveexec_b64 s[0:1], vcc
	s_xor_b64 s[18:19], exec, s[0:1]
	s_cbranch_execz .LBB5_37
; %bb.30:                               ;   in Loop: Header=BB5_8 Depth=1
	v_cmp_ne_u32_e32 vcc, 0, v2
	v_pk_mov_b32 v[22:23], 0, 0
	s_and_saveexec_b64 s[20:21], vcc
	s_cbranch_execz .LBB5_36
; %bb.31:                               ;   in Loop: Header=BB5_8 Depth=1
	v_bfe_u32 v16, v2, 23, 8
	v_and_b32_e32 v6, 0x7fffff, v2
	v_sub_u32_e64 v19, s36, v16 clamp
	v_cmp_eq_u32_e32 vcc, 0, v16
	v_or_b32_e32 v21, 0x800000, v6
	v_cndmask_b32_e32 v19, v19, v32, vcc
	v_add_u32_e32 v26, 0xffffff89, v16
	v_cndmask_b32_e32 v16, v21, v6, vcc
	v_add_u32_e32 v6, 20, v19
	v_lshlrev_b64 v[22:23], v6, -1
	v_not_b32_e32 v6, v22
	v_and_b32_e32 v22, v16, v6
	v_add_u32_e32 v6, 19, v19
	v_mov_b32_e32 v23, v17
	v_lshlrev_b64 v[24:25], v6, 1
	v_cmp_eq_u64_e64 s[0:1], v[22:23], v[24:25]
	v_lshrrev_b64 v[22:23], v19, v[16:17]
	v_cndmask_b32_e32 v6, v26, v33, vcc
	v_lshrrev_b32_e32 v16, 23, v22
	v_add3_u32 v19, v6, v19, v16
	v_and_b32_e32 v16, 0x100000, v22
	v_cmp_eq_u64_e32 vcc, 0, v[16:17]
	s_and_b64 vcc, vcc, s[0:1]
	v_subbrev_co_u32_e32 v6, vcc, 0, v22, vcc
	v_and_b32_e32 v6, 0xfffff, v6
	v_add_co_u32_e32 v22, vcc, v6, v22
	v_add_u32_e32 v21, -1, v19
	v_addc_co_u32_e32 v23, vcc, 0, v23, vcc
	v_cmp_ne_u32_e32 vcc, 0, v21
                                        ; implicit-def: $vgpr6
	s_and_saveexec_b64 s[0:1], vcc
	s_xor_b64 s[0:1], exec, s[0:1]
; %bb.32:                               ;   in Loop: Header=BB5_8 Depth=1
	v_and_b32_e32 v16, 0x1000000, v22
	v_cmp_eq_u64_e32 vcc, 0, v[16:17]
	v_bfe_u32 v16, v22, 24, 1
	v_cndmask_b32_e32 v6, v19, v21, vcc
	v_lshrrev_b64 v[22:23], v16, v[22:23]
; %bb.33:                               ;   in Loop: Header=BB5_8 Depth=1
	s_andn2_saveexec_b64 s[0:1], s[0:1]
; %bb.34:                               ;   in Loop: Header=BB5_8 Depth=1
	v_bfe_u32 v6, v22, 23, 1
; %bb.35:                               ;   in Loop: Header=BB5_8 Depth=1
	s_or_b64 exec, exec, s[0:1]
	v_lshrrev_b64 v[22:23], 20, v[22:23]
	v_cmp_gt_i32_e32 vcc, 16, v6
	v_and_b32_sdwa v2, v2, s37 dst_sel:DWORD dst_unused:UNUSED_PAD src0_sel:BYTE_3 src1_sel:DWORD
	v_min_i32_e32 v16, 15, v6
	v_cndmask_b32_e32 v23, 0, v23, vcc
	v_cndmask_b32_e32 v22, 7, v22, vcc
	v_cmp_eq_u32_e32 vcc, 0, v6
	v_cmp_eq_u64_e64 s[0:1], 0, v[22:23]
	v_lshl_or_b32 v2, v16, 3, v2
	v_and_or_b32 v2, v22, 7, v2
	s_and_b64 s[0:1], vcc, s[0:1]
	v_cndmask_b32_e64 v22, v2, 0, s[0:1]
.LBB5_36:                               ;   in Loop: Header=BB5_8 Depth=1
	s_or_b64 exec, exec, s[20:21]
.LBB5_37:                               ;   in Loop: Header=BB5_8 Depth=1
	s_andn2_saveexec_b64 s[0:1], s[18:19]
	s_or_b64 exec, exec, s[0:1]
.LBB5_38:                               ;   in Loop: Header=BB5_8 Depth=1
	s_andn2_saveexec_b64 s[0:1], s[16:17]
	s_or_b64 exec, exec, s[0:1]
	v_and_b32_e32 v2, 0xffff0000, v7
	v_xor_b32_e32 v6, 0x80000000, v2
	v_bfe_u32 v7, v6, 16, 1
	v_add3_u32 v6, v6, v7, s9
	v_and_b32_e32 v6, 0xffff0000, v6
	v_cmp_o_f32_e32 vcc, v2, v2
	v_cndmask_b32_e32 v6, v30, v6, vcc
	v_mul_f32_e32 v7, 0x3fb8aa3b, v6
	v_fma_f32 v16, v6, s31, -v7
	v_rndne_f32_e32 v19, v7
	v_fmac_f32_e32 v16, 0x32a5705f, v6
	v_sub_f32_e32 v7, v7, v19
	v_add_f32_e32 v7, v7, v16
	v_exp_f32_e32 v7, v7
	v_cvt_i32_f32_e32 v16, v19
	v_cmp_ngt_f32_e32 vcc, s33, v6
	v_and_b32_e32 v3, 0xffff0000, v3
	v_ldexp_f32 v7, v7, v16
	v_cndmask_b32_e32 v7, 0, v7, vcc
	v_cmp_nlt_f32_e32 vcc, s34, v6
	v_cndmask_b32_e32 v6, v31, v7, vcc
	v_add_f32_e32 v6, 1.0, v6
	v_div_scale_f32 v7, s[0:1], v6, v6, v2
	v_rcp_f32_e32 v16, v7
	v_fma_f32 v19, -v7, v16, 1.0
	v_fmac_f32_e32 v16, v19, v16
	v_div_scale_f32 v19, vcc, v2, v6, v2
	v_mul_f32_e32 v21, v19, v16
	v_fma_f32 v23, -v7, v21, v19
	v_fmac_f32_e32 v21, v23, v16
	v_fma_f32 v7, -v7, v21, v19
	v_div_fmas_f32 v7, v7, v16, v21
	v_div_fixup_f32 v2, v7, v6, v2
	v_bfe_u32 v6, v2, 16, 1
	v_add3_u32 v6, v2, v6, s9
	v_and_b32_e32 v6, 0xffff0000, v6
	v_cmp_o_f32_e32 vcc, v2, v2
	v_cndmask_b32_e32 v2, v30, v6, vcc
	v_mul_f32_e32 v2, v2, v3
	v_bfe_u32 v3, v2, 16, 1
	v_add3_u32 v3, v2, v3, s9
	v_and_b32_e32 v3, 0xffff0000, v3
	v_cmp_o_f32_e32 vcc, v2, v2
	v_cndmask_b32_e32 v2, v30, v3, vcc
	v_mul_f32_e32 v2, v10, v2
	v_min_f32_e32 v2, 0x43600000, v2
	v_max_f32_e32 v6, 0xc3600000, v2
	v_and_b32_e32 v16, 0x7f800000, v6
	v_or_b32_sdwa v2, v6, s35 dst_sel:DWORD dst_unused:UNUSED_PAD src0_sel:BYTE_3 src1_sel:DWORD
	v_cmp_ne_u64_e32 vcc, s[12:13], v[16:17]
	s_and_saveexec_b64 s[0:1], vcc
	s_xor_b64 s[16:17], exec, s[0:1]
	s_cbranch_execz .LBB5_48
; %bb.39:                               ;   in Loop: Header=BB5_8 Depth=1
	v_and_b32_e32 v16, 0x7fffffff, v6
	v_cmp_gt_u64_e32 vcc, s[14:15], v[16:17]
	s_and_saveexec_b64 s[0:1], vcc
	s_xor_b64 s[18:19], exec, s[0:1]
	s_cbranch_execz .LBB5_47
; %bb.40:                               ;   in Loop: Header=BB5_8 Depth=1
	v_cmp_ne_u32_e32 vcc, 0, v6
	v_pk_mov_b32 v[2:3], 0, 0
	s_and_saveexec_b64 s[20:21], vcc
	s_cbranch_execz .LBB5_46
; %bb.41:                               ;   in Loop: Header=BB5_8 Depth=1
	v_bfe_u32 v3, v6, 23, 8
	v_and_b32_e32 v2, 0x7fffff, v6
	v_sub_u32_e64 v7, s36, v3 clamp
	v_cmp_eq_u32_e32 vcc, 0, v3
	v_or_b32_e32 v16, 0x800000, v2
	v_cndmask_b32_e32 v7, v7, v32, vcc
	v_cndmask_b32_e32 v16, v16, v2, vcc
	v_add_u32_e32 v2, 20, v7
	v_add_u32_e32 v19, 0xffffff89, v3
	v_lshlrev_b64 v[2:3], v2, -1
	v_not_b32_e32 v2, v2
	v_add_u32_e32 v21, 19, v7
	v_and_b32_e32 v2, v16, v2
	v_mov_b32_e32 v3, v17
	v_lshlrev_b64 v[24:25], v21, 1
	v_cmp_eq_u64_e64 s[0:1], v[2:3], v[24:25]
	v_lshrrev_b64 v[2:3], v7, v[16:17]
	v_cndmask_b32_e32 v16, v19, v33, vcc
	v_lshrrev_b32_e32 v19, 23, v2
	v_add3_u32 v19, v16, v7, v19
	v_and_b32_e32 v16, 0x100000, v2
	v_cmp_eq_u64_e32 vcc, 0, v[16:17]
	s_and_b64 vcc, vcc, s[0:1]
	v_subbrev_co_u32_e32 v7, vcc, 0, v2, vcc
	v_and_b32_e32 v7, 0xfffff, v7
	v_add_co_u32_e32 v2, vcc, v7, v2
	v_add_u32_e32 v21, -1, v19
	v_addc_co_u32_e32 v3, vcc, 0, v3, vcc
	v_cmp_ne_u32_e32 vcc, 0, v21
                                        ; implicit-def: $vgpr7
	s_and_saveexec_b64 s[0:1], vcc
	s_xor_b64 s[0:1], exec, s[0:1]
; %bb.42:                               ;   in Loop: Header=BB5_8 Depth=1
	v_and_b32_e32 v16, 0x1000000, v2
	v_cmp_eq_u64_e32 vcc, 0, v[16:17]
	v_bfe_u32 v16, v2, 24, 1
	v_cndmask_b32_e32 v7, v19, v21, vcc
	v_lshrrev_b64 v[2:3], v16, v[2:3]
; %bb.43:                               ;   in Loop: Header=BB5_8 Depth=1
	s_andn2_saveexec_b64 s[0:1], s[0:1]
; %bb.44:                               ;   in Loop: Header=BB5_8 Depth=1
	v_bfe_u32 v7, v2, 23, 1
; %bb.45:                               ;   in Loop: Header=BB5_8 Depth=1
	s_or_b64 exec, exec, s[0:1]
	v_lshrrev_b64 v[2:3], 20, v[2:3]
	v_cmp_gt_i32_e32 vcc, 16, v7
	v_and_b32_sdwa v6, v6, s37 dst_sel:DWORD dst_unused:UNUSED_PAD src0_sel:BYTE_3 src1_sel:DWORD
	v_min_i32_e32 v16, 15, v7
	v_cndmask_b32_e32 v3, 0, v3, vcc
	v_cndmask_b32_e32 v2, 7, v2, vcc
	v_cmp_eq_u32_e32 vcc, 0, v7
	v_cmp_eq_u64_e64 s[0:1], 0, v[2:3]
	v_lshl_or_b32 v3, v16, 3, v6
	v_and_or_b32 v2, v2, 7, v3
	s_and_b64 s[0:1], vcc, s[0:1]
	v_cndmask_b32_e64 v2, v2, 0, s[0:1]
.LBB5_46:                               ;   in Loop: Header=BB5_8 Depth=1
	s_or_b64 exec, exec, s[20:21]
.LBB5_47:                               ;   in Loop: Header=BB5_8 Depth=1
	s_andn2_saveexec_b64 s[0:1], s[18:19]
	s_or_b64 exec, exec, s[0:1]
.LBB5_48:                               ;   in Loop: Header=BB5_8 Depth=1
	s_andn2_saveexec_b64 s[0:1], s[16:17]
	s_or_b64 exec, exec, s[0:1]
	v_lshlrev_b32_e32 v3, 16, v8
	v_xor_b32_e32 v6, 0x80000000, v3
	v_bfe_u32 v7, v6, 16, 1
	v_add3_u32 v6, v6, v7, s9
	v_and_b32_e32 v6, 0xffff0000, v6
	v_cmp_o_f32_e32 vcc, v3, v3
	v_cndmask_b32_e32 v6, v30, v6, vcc
	v_mul_f32_e32 v7, 0x3fb8aa3b, v6
	v_fma_f32 v16, v6, s31, -v7
	v_rndne_f32_e32 v19, v7
	v_fmac_f32_e32 v16, 0x32a5705f, v6
	v_sub_f32_e32 v7, v7, v19
	v_add_f32_e32 v7, v7, v16
	v_exp_f32_e32 v7, v7
	v_cvt_i32_f32_e32 v16, v19
	v_cmp_ngt_f32_e32 vcc, s33, v6
	v_ldexp_f32 v7, v7, v16
	v_cndmask_b32_e32 v7, 0, v7, vcc
	v_cmp_nlt_f32_e32 vcc, s34, v6
	v_cndmask_b32_e32 v6, v31, v7, vcc
	v_add_f32_e32 v6, 1.0, v6
	v_div_scale_f32 v7, s[0:1], v6, v6, v3
	v_rcp_f32_e32 v16, v7
	v_fma_f32 v19, -v7, v16, 1.0
	v_fmac_f32_e32 v16, v19, v16
	v_div_scale_f32 v19, vcc, v3, v6, v3
	v_mul_f32_e32 v21, v19, v16
	v_fma_f32 v23, -v7, v21, v19
	v_fmac_f32_e32 v21, v23, v16
	v_fma_f32 v7, -v7, v21, v19
	v_div_fmas_f32 v7, v7, v16, v21
	v_div_fixup_f32 v3, v7, v6, v3
	v_bfe_u32 v6, v3, 16, 1
	v_add3_u32 v6, v3, v6, s9
	v_and_b32_e32 v6, 0xffff0000, v6
	v_cmp_o_f32_e32 vcc, v3, v3
	v_cndmask_b32_e32 v3, v30, v6, vcc
	v_lshlrev_b32_e32 v6, 16, v4
	v_mul_f32_e32 v3, v3, v6
	v_bfe_u32 v6, v3, 16, 1
	v_add3_u32 v6, v3, v6, s9
	v_and_b32_e32 v6, 0xffff0000, v6
	v_cmp_o_f32_e32 vcc, v3, v3
	v_cndmask_b32_e32 v3, v30, v6, vcc
	v_mul_f32_e32 v3, v10, v3
	v_min_f32_e32 v3, 0x43600000, v3
	v_max_f32_e32 v3, 0xc3600000, v3
	v_and_b32_e32 v16, 0x7f800000, v3
	v_or_b32_sdwa v6, v3, s35 dst_sel:DWORD dst_unused:UNUSED_PAD src0_sel:BYTE_3 src1_sel:DWORD
	v_cmp_ne_u64_e32 vcc, s[12:13], v[16:17]
	s_and_saveexec_b64 s[0:1], vcc
	s_xor_b64 s[16:17], exec, s[0:1]
	s_cbranch_execz .LBB5_58
; %bb.49:                               ;   in Loop: Header=BB5_8 Depth=1
	v_and_b32_e32 v16, 0x7fffffff, v3
	v_cmp_gt_u64_e32 vcc, s[14:15], v[16:17]
	s_and_saveexec_b64 s[0:1], vcc
	s_xor_b64 s[18:19], exec, s[0:1]
	s_cbranch_execz .LBB5_57
; %bb.50:                               ;   in Loop: Header=BB5_8 Depth=1
	v_cmp_ne_u32_e32 vcc, 0, v3
	v_pk_mov_b32 v[6:7], 0, 0
	s_and_saveexec_b64 s[20:21], vcc
	s_cbranch_execz .LBB5_56
; %bb.51:                               ;   in Loop: Header=BB5_8 Depth=1
	v_bfe_u32 v7, v3, 23, 8
	v_and_b32_e32 v6, 0x7fffff, v3
	v_sub_u32_e64 v16, s36, v7 clamp
	v_cmp_eq_u32_e32 vcc, 0, v7
	v_or_b32_e32 v19, 0x800000, v6
	v_cndmask_b32_e32 v23, v16, v32, vcc
	v_cndmask_b32_e32 v16, v19, v6, vcc
	v_add_u32_e32 v6, 20, v23
	v_add_u32_e32 v21, 0xffffff89, v7
	v_lshlrev_b64 v[6:7], v6, -1
	v_not_b32_e32 v6, v6
	v_add_u32_e32 v19, 19, v23
	v_and_b32_e32 v6, v16, v6
	v_mov_b32_e32 v7, v17
	v_lshlrev_b64 v[24:25], v19, 1
	v_cmp_eq_u64_e64 s[0:1], v[6:7], v[24:25]
	v_lshrrev_b64 v[6:7], v23, v[16:17]
	v_cndmask_b32_e32 v16, v21, v33, vcc
	v_lshrrev_b32_e32 v19, 23, v6
	v_add3_u32 v19, v16, v23, v19
	v_and_b32_e32 v16, 0x100000, v6
	v_cmp_eq_u64_e32 vcc, 0, v[16:17]
	s_and_b64 vcc, vcc, s[0:1]
	v_subbrev_co_u32_e32 v16, vcc, 0, v6, vcc
	v_and_b32_e32 v16, 0xfffff, v16
	v_add_co_u32_e32 v6, vcc, v16, v6
	v_add_u32_e32 v21, -1, v19
	v_addc_co_u32_e32 v7, vcc, 0, v7, vcc
	v_cmp_ne_u32_e32 vcc, 0, v21
                                        ; implicit-def: $vgpr16
	s_and_saveexec_b64 s[0:1], vcc
	s_xor_b64 s[0:1], exec, s[0:1]
; %bb.52:                               ;   in Loop: Header=BB5_8 Depth=1
	v_and_b32_e32 v16, 0x1000000, v6
	v_cmp_eq_u64_e32 vcc, 0, v[16:17]
	v_cndmask_b32_e32 v16, v19, v21, vcc
	v_bfe_u32 v19, v6, 24, 1
	v_lshrrev_b64 v[6:7], v19, v[6:7]
; %bb.53:                               ;   in Loop: Header=BB5_8 Depth=1
	s_andn2_saveexec_b64 s[0:1], s[0:1]
; %bb.54:                               ;   in Loop: Header=BB5_8 Depth=1
	v_bfe_u32 v16, v6, 23, 1
; %bb.55:                               ;   in Loop: Header=BB5_8 Depth=1
	s_or_b64 exec, exec, s[0:1]
	v_lshrrev_b64 v[6:7], 20, v[6:7]
	v_cmp_gt_i32_e32 vcc, 16, v16
	v_and_b32_sdwa v3, v3, s37 dst_sel:DWORD dst_unused:UNUSED_PAD src0_sel:BYTE_3 src1_sel:DWORD
	v_min_i32_e32 v19, 15, v16
	v_cndmask_b32_e32 v7, 0, v7, vcc
	v_cndmask_b32_e32 v6, 7, v6, vcc
	v_cmp_eq_u32_e32 vcc, 0, v16
	v_cmp_eq_u64_e64 s[0:1], 0, v[6:7]
	v_lshl_or_b32 v3, v19, 3, v3
	v_and_or_b32 v3, v6, 7, v3
	s_and_b64 s[0:1], vcc, s[0:1]
	v_cndmask_b32_e64 v6, v3, 0, s[0:1]
.LBB5_56:                               ;   in Loop: Header=BB5_8 Depth=1
	s_or_b64 exec, exec, s[20:21]
.LBB5_57:                               ;   in Loop: Header=BB5_8 Depth=1
	s_andn2_saveexec_b64 s[0:1], s[18:19]
	s_or_b64 exec, exec, s[0:1]
.LBB5_58:                               ;   in Loop: Header=BB5_8 Depth=1
	s_andn2_saveexec_b64 s[0:1], s[16:17]
	s_or_b64 exec, exec, s[0:1]
	v_and_b32_e32 v3, 0xffff0000, v8
	v_xor_b32_e32 v7, 0x80000000, v3
	v_bfe_u32 v8, v7, 16, 1
	v_add3_u32 v7, v7, v8, s9
	v_and_b32_e32 v7, 0xffff0000, v7
	v_cmp_o_f32_e32 vcc, v3, v3
	v_cndmask_b32_e32 v7, v30, v7, vcc
	v_mul_f32_e32 v8, 0x3fb8aa3b, v7
	v_fma_f32 v16, v7, s31, -v8
	v_rndne_f32_e32 v19, v8
	v_fmac_f32_e32 v16, 0x32a5705f, v7
	v_sub_f32_e32 v8, v8, v19
	v_add_f32_e32 v8, v8, v16
	v_exp_f32_e32 v8, v8
	v_cvt_i32_f32_e32 v16, v19
	v_cmp_ngt_f32_e32 vcc, s33, v7
	v_and_b32_e32 v4, 0xffff0000, v4
	v_ldexp_f32 v8, v8, v16
	v_cndmask_b32_e32 v8, 0, v8, vcc
	v_cmp_nlt_f32_e32 vcc, s34, v7
	v_cndmask_b32_e32 v7, v31, v8, vcc
	v_add_f32_e32 v7, 1.0, v7
	v_div_scale_f32 v8, s[0:1], v7, v7, v3
	v_rcp_f32_e32 v16, v8
	v_fma_f32 v19, -v8, v16, 1.0
	v_fmac_f32_e32 v16, v19, v16
	v_div_scale_f32 v19, vcc, v3, v7, v3
	v_mul_f32_e32 v21, v19, v16
	v_fma_f32 v23, -v8, v21, v19
	v_fmac_f32_e32 v21, v23, v16
	v_fma_f32 v8, -v8, v21, v19
	v_div_fmas_f32 v8, v8, v16, v21
	v_div_fixup_f32 v3, v8, v7, v3
	v_bfe_u32 v7, v3, 16, 1
	v_add3_u32 v7, v3, v7, s9
	v_and_b32_e32 v7, 0xffff0000, v7
	v_cmp_o_f32_e32 vcc, v3, v3
	v_cndmask_b32_e32 v3, v30, v7, vcc
	v_mul_f32_e32 v3, v3, v4
	v_bfe_u32 v4, v3, 16, 1
	v_add3_u32 v4, v3, v4, s9
	v_and_b32_e32 v4, 0xffff0000, v4
	v_cmp_o_f32_e32 vcc, v3, v3
	v_cndmask_b32_e32 v3, v30, v4, vcc
	v_mul_f32_e32 v3, v10, v3
	v_min_f32_e32 v3, 0x43600000, v3
	v_max_f32_e32 v3, 0xc3600000, v3
	v_and_b32_e32 v16, 0x7f800000, v3
	v_or_b32_sdwa v24, v3, s35 dst_sel:DWORD dst_unused:UNUSED_PAD src0_sel:BYTE_3 src1_sel:DWORD
	v_cmp_ne_u64_e32 vcc, s[12:13], v[16:17]
	s_and_saveexec_b64 s[0:1], vcc
	s_xor_b64 s[16:17], exec, s[0:1]
	s_cbranch_execz .LBB5_68
; %bb.59:                               ;   in Loop: Header=BB5_8 Depth=1
	v_and_b32_e32 v16, 0x7fffffff, v3
	v_cmp_gt_u64_e32 vcc, s[14:15], v[16:17]
	s_and_saveexec_b64 s[0:1], vcc
	s_xor_b64 s[18:19], exec, s[0:1]
	s_cbranch_execz .LBB5_67
; %bb.60:                               ;   in Loop: Header=BB5_8 Depth=1
	v_cmp_ne_u32_e32 vcc, 0, v3
	v_pk_mov_b32 v[24:25], 0, 0
	s_and_saveexec_b64 s[20:21], vcc
	s_cbranch_execz .LBB5_66
; %bb.61:                               ;   in Loop: Header=BB5_8 Depth=1
	v_bfe_u32 v7, v3, 23, 8
	v_and_b32_e32 v4, 0x7fffff, v3
	v_sub_u32_e64 v8, s36, v7 clamp
	v_cmp_eq_u32_e32 vcc, 0, v7
	v_or_b32_e32 v16, 0x800000, v4
	v_add_u32_e32 v19, 0xffffff89, v7
	v_cndmask_b32_e32 v7, v8, v32, vcc
	v_cndmask_b32_e32 v16, v16, v4, vcc
	v_add_u32_e32 v4, 20, v7
	v_lshlrev_b64 v[24:25], v4, -1
	v_not_b32_e32 v4, v24
	v_and_b32_e32 v24, v16, v4
	v_add_u32_e32 v4, 19, v7
	v_mov_b32_e32 v25, v17
	v_lshlrev_b64 v[26:27], v4, 1
	v_cmp_eq_u64_e64 s[0:1], v[24:25], v[26:27]
	v_lshrrev_b64 v[24:25], v7, v[16:17]
	v_and_b32_e32 v16, 0x100000, v24
	v_cndmask_b32_e32 v4, v19, v33, vcc
	v_cmp_eq_u64_e32 vcc, 0, v[16:17]
	v_lshrrev_b32_e32 v8, 23, v24
	s_and_b64 vcc, vcc, s[0:1]
	v_add3_u32 v7, v4, v7, v8
	v_subbrev_co_u32_e32 v4, vcc, 0, v24, vcc
	v_and_b32_e32 v4, 0xfffff, v4
	v_add_co_u32_e32 v24, vcc, v4, v24
	v_add_u32_e32 v8, -1, v7
	v_addc_co_u32_e32 v25, vcc, 0, v25, vcc
	v_cmp_ne_u32_e32 vcc, 0, v8
                                        ; implicit-def: $vgpr4
	s_and_saveexec_b64 s[0:1], vcc
	s_xor_b64 s[0:1], exec, s[0:1]
; %bb.62:                               ;   in Loop: Header=BB5_8 Depth=1
	v_and_b32_e32 v16, 0x1000000, v24
	v_cmp_eq_u64_e32 vcc, 0, v[16:17]
	v_cndmask_b32_e32 v4, v7, v8, vcc
	v_bfe_u32 v7, v24, 24, 1
	v_lshrrev_b64 v[24:25], v7, v[24:25]
; %bb.63:                               ;   in Loop: Header=BB5_8 Depth=1
	s_andn2_saveexec_b64 s[0:1], s[0:1]
; %bb.64:                               ;   in Loop: Header=BB5_8 Depth=1
	v_bfe_u32 v4, v24, 23, 1
; %bb.65:                               ;   in Loop: Header=BB5_8 Depth=1
	s_or_b64 exec, exec, s[0:1]
	v_lshrrev_b64 v[24:25], 20, v[24:25]
	v_cmp_gt_i32_e32 vcc, 16, v4
	v_and_b32_sdwa v3, v3, s37 dst_sel:DWORD dst_unused:UNUSED_PAD src0_sel:BYTE_3 src1_sel:DWORD
	v_min_i32_e32 v7, 15, v4
	v_cndmask_b32_e32 v25, 0, v25, vcc
	v_cndmask_b32_e32 v24, 7, v24, vcc
	v_cmp_eq_u32_e32 vcc, 0, v4
	v_cmp_eq_u64_e64 s[0:1], 0, v[24:25]
	v_lshl_or_b32 v3, v7, 3, v3
	v_and_or_b32 v3, v24, 7, v3
	s_and_b64 s[0:1], vcc, s[0:1]
	v_cndmask_b32_e64 v24, v3, 0, s[0:1]
.LBB5_66:                               ;   in Loop: Header=BB5_8 Depth=1
	s_or_b64 exec, exec, s[20:21]
.LBB5_67:                               ;   in Loop: Header=BB5_8 Depth=1
	s_andn2_saveexec_b64 s[0:1], s[18:19]
	s_or_b64 exec, exec, s[0:1]
.LBB5_68:                               ;   in Loop: Header=BB5_8 Depth=1
	s_andn2_saveexec_b64 s[0:1], s[16:17]
	s_or_b64 exec, exec, s[0:1]
	v_lshlrev_b32_e32 v3, 16, v9
	v_xor_b32_e32 v4, 0x80000000, v3
	v_bfe_u32 v7, v4, 16, 1
	v_add3_u32 v4, v4, v7, s9
	v_and_b32_e32 v4, 0xffff0000, v4
	v_cmp_o_f32_e32 vcc, v3, v3
	v_cndmask_b32_e32 v4, v30, v4, vcc
	v_mul_f32_e32 v7, 0x3fb8aa3b, v4
	v_fma_f32 v8, v4, s31, -v7
	v_rndne_f32_e32 v16, v7
	v_fmac_f32_e32 v8, 0x32a5705f, v4
	v_sub_f32_e32 v7, v7, v16
	v_add_f32_e32 v7, v7, v8
	v_exp_f32_e32 v7, v7
	v_cvt_i32_f32_e32 v8, v16
	v_cmp_ngt_f32_e32 vcc, s33, v4
	v_ldexp_f32 v7, v7, v8
	v_cndmask_b32_e32 v7, 0, v7, vcc
	v_cmp_nlt_f32_e32 vcc, s34, v4
	v_cndmask_b32_e32 v4, v31, v7, vcc
	v_add_f32_e32 v4, 1.0, v4
	v_div_scale_f32 v7, s[0:1], v4, v4, v3
	v_rcp_f32_e32 v8, v7
	v_fma_f32 v16, -v7, v8, 1.0
	v_fmac_f32_e32 v8, v16, v8
	v_div_scale_f32 v16, vcc, v3, v4, v3
	v_mul_f32_e32 v19, v16, v8
	v_fma_f32 v21, -v7, v19, v16
	v_fmac_f32_e32 v19, v21, v8
	v_fma_f32 v7, -v7, v19, v16
	v_div_fmas_f32 v7, v7, v8, v19
	v_div_fixup_f32 v3, v7, v4, v3
	v_bfe_u32 v4, v3, 16, 1
	v_add3_u32 v4, v3, v4, s9
	v_and_b32_e32 v4, 0xffff0000, v4
	v_cmp_o_f32_e32 vcc, v3, v3
	v_cndmask_b32_e32 v3, v30, v4, vcc
	v_lshlrev_b32_e32 v4, 16, v5
	v_mul_f32_e32 v3, v3, v4
	v_bfe_u32 v4, v3, 16, 1
	v_add3_u32 v4, v3, v4, s9
	v_and_b32_e32 v4, 0xffff0000, v4
	v_cmp_o_f32_e32 vcc, v3, v3
	v_cndmask_b32_e32 v3, v30, v4, vcc
	v_mul_f32_e32 v3, v10, v3
	v_min_f32_e32 v3, 0x43600000, v3
	v_max_f32_e32 v3, 0xc3600000, v3
	v_and_b32_e32 v16, 0x7f800000, v3
	v_or_b32_sdwa v26, v3, s35 dst_sel:DWORD dst_unused:UNUSED_PAD src0_sel:BYTE_3 src1_sel:DWORD
	v_cmp_ne_u64_e32 vcc, s[12:13], v[16:17]
	s_and_saveexec_b64 s[0:1], vcc
	s_xor_b64 s[16:17], exec, s[0:1]
	s_cbranch_execz .LBB5_78
; %bb.69:                               ;   in Loop: Header=BB5_8 Depth=1
	v_and_b32_e32 v16, 0x7fffffff, v3
	v_cmp_gt_u64_e32 vcc, s[14:15], v[16:17]
	s_and_saveexec_b64 s[0:1], vcc
	s_xor_b64 s[18:19], exec, s[0:1]
	s_cbranch_execz .LBB5_77
; %bb.70:                               ;   in Loop: Header=BB5_8 Depth=1
	v_cmp_ne_u32_e32 vcc, 0, v3
	v_pk_mov_b32 v[26:27], 0, 0
	s_and_saveexec_b64 s[20:21], vcc
	s_cbranch_execz .LBB5_76
; %bb.71:                               ;   in Loop: Header=BB5_8 Depth=1
	v_bfe_u32 v7, v3, 23, 8
	v_and_b32_e32 v4, 0x7fffff, v3
	v_sub_u32_e64 v8, s36, v7 clamp
	v_cmp_eq_u32_e32 vcc, 0, v7
	v_or_b32_e32 v16, 0x800000, v4
	v_add_u32_e32 v19, 0xffffff89, v7
	v_cndmask_b32_e32 v7, v8, v32, vcc
	v_cndmask_b32_e32 v16, v16, v4, vcc
	v_add_u32_e32 v4, 20, v7
	v_lshlrev_b64 v[26:27], v4, -1
	v_not_b32_e32 v4, v26
	v_and_b32_e32 v26, v16, v4
	v_add_u32_e32 v4, 19, v7
	v_mov_b32_e32 v27, v17
	v_lshlrev_b64 v[34:35], v4, 1
	v_cmp_eq_u64_e64 s[0:1], v[26:27], v[34:35]
	v_lshrrev_b64 v[26:27], v7, v[16:17]
	v_and_b32_e32 v16, 0x100000, v26
	v_cndmask_b32_e32 v4, v19, v33, vcc
	v_cmp_eq_u64_e32 vcc, 0, v[16:17]
	v_lshrrev_b32_e32 v8, 23, v26
	s_and_b64 vcc, vcc, s[0:1]
	v_add3_u32 v7, v4, v7, v8
	v_subbrev_co_u32_e32 v4, vcc, 0, v26, vcc
	v_and_b32_e32 v4, 0xfffff, v4
	v_add_co_u32_e32 v26, vcc, v4, v26
	v_add_u32_e32 v8, -1, v7
	v_addc_co_u32_e32 v27, vcc, 0, v27, vcc
	v_cmp_ne_u32_e32 vcc, 0, v8
                                        ; implicit-def: $vgpr4
	s_and_saveexec_b64 s[0:1], vcc
	s_xor_b64 s[0:1], exec, s[0:1]
; %bb.72:                               ;   in Loop: Header=BB5_8 Depth=1
	v_and_b32_e32 v16, 0x1000000, v26
	v_cmp_eq_u64_e32 vcc, 0, v[16:17]
	v_cndmask_b32_e32 v4, v7, v8, vcc
	v_bfe_u32 v7, v26, 24, 1
	v_lshrrev_b64 v[26:27], v7, v[26:27]
; %bb.73:                               ;   in Loop: Header=BB5_8 Depth=1
	s_andn2_saveexec_b64 s[0:1], s[0:1]
; %bb.74:                               ;   in Loop: Header=BB5_8 Depth=1
	v_bfe_u32 v4, v26, 23, 1
; %bb.75:                               ;   in Loop: Header=BB5_8 Depth=1
	s_or_b64 exec, exec, s[0:1]
	v_lshrrev_b64 v[26:27], 20, v[26:27]
	v_cmp_gt_i32_e32 vcc, 16, v4
	v_and_b32_sdwa v3, v3, s37 dst_sel:DWORD dst_unused:UNUSED_PAD src0_sel:BYTE_3 src1_sel:DWORD
	v_min_i32_e32 v7, 15, v4
	v_cndmask_b32_e32 v27, 0, v27, vcc
	v_cndmask_b32_e32 v26, 7, v26, vcc
	v_cmp_eq_u32_e32 vcc, 0, v4
	v_cmp_eq_u64_e64 s[0:1], 0, v[26:27]
	v_lshl_or_b32 v3, v7, 3, v3
	v_and_or_b32 v3, v26, 7, v3
	s_and_b64 s[0:1], vcc, s[0:1]
	v_cndmask_b32_e64 v26, v3, 0, s[0:1]
.LBB5_76:                               ;   in Loop: Header=BB5_8 Depth=1
	s_or_b64 exec, exec, s[20:21]
.LBB5_77:                               ;   in Loop: Header=BB5_8 Depth=1
	s_andn2_saveexec_b64 s[0:1], s[18:19]
	s_or_b64 exec, exec, s[0:1]
.LBB5_78:                               ;   in Loop: Header=BB5_8 Depth=1
	s_andn2_saveexec_b64 s[0:1], s[16:17]
	s_or_b64 exec, exec, s[0:1]
	v_and_b32_e32 v3, 0xffff0000, v9
	v_xor_b32_e32 v4, 0x80000000, v3
	v_bfe_u32 v7, v4, 16, 1
	v_add3_u32 v4, v4, v7, s9
	v_and_b32_e32 v4, 0xffff0000, v4
	v_cmp_o_f32_e32 vcc, v3, v3
	v_cndmask_b32_e32 v4, v30, v4, vcc
	v_mul_f32_e32 v7, 0x3fb8aa3b, v4
	v_fma_f32 v8, v4, s31, -v7
	v_rndne_f32_e32 v9, v7
	v_fmac_f32_e32 v8, 0x32a5705f, v4
	v_sub_f32_e32 v7, v7, v9
	v_add_f32_e32 v7, v7, v8
	v_exp_f32_e32 v7, v7
	v_cvt_i32_f32_e32 v8, v9
	v_cmp_ngt_f32_e32 vcc, s33, v4
	v_ldexp_f32 v7, v7, v8
	v_cndmask_b32_e32 v7, 0, v7, vcc
	v_cmp_nlt_f32_e32 vcc, s34, v4
	v_cndmask_b32_e32 v4, v31, v7, vcc
	v_add_f32_e32 v4, 1.0, v4
	v_div_scale_f32 v7, s[0:1], v4, v4, v3
	v_rcp_f32_e32 v8, v7
	v_fma_f32 v9, -v7, v8, 1.0
	v_fmac_f32_e32 v8, v9, v8
	v_div_scale_f32 v9, vcc, v3, v4, v3
	v_mul_f32_e32 v16, v9, v8
	v_fma_f32 v19, -v7, v16, v9
	v_fmac_f32_e32 v16, v19, v8
	v_fma_f32 v7, -v7, v16, v9
	v_div_fmas_f32 v7, v7, v8, v16
	v_div_fixup_f32 v3, v7, v4, v3
	v_bfe_u32 v4, v3, 16, 1
	v_add3_u32 v4, v3, v4, s9
	v_and_b32_e32 v4, 0xffff0000, v4
	v_cmp_o_f32_e32 vcc, v3, v3
	v_cndmask_b32_e32 v3, v30, v4, vcc
	v_and_b32_e32 v4, 0xffff0000, v5
	v_mul_f32_e32 v3, v3, v4
	v_bfe_u32 v4, v3, 16, 1
	v_add3_u32 v4, v3, v4, s9
	v_and_b32_e32 v4, 0xffff0000, v4
	v_cmp_o_f32_e32 vcc, v3, v3
	v_cndmask_b32_e32 v3, v30, v4, vcc
	v_mul_f32_e32 v3, v10, v3
	v_min_f32_e32 v3, 0x43600000, v3
	v_max_f32_e32 v3, 0xc3600000, v3
	v_and_b32_e32 v16, 0x7f800000, v3
	v_or_b32_sdwa v4, v3, s35 dst_sel:DWORD dst_unused:UNUSED_PAD src0_sel:BYTE_3 src1_sel:DWORD
	v_cmp_ne_u64_e32 vcc, s[12:13], v[16:17]
	s_and_saveexec_b64 s[0:1], vcc
	s_xor_b64 s[16:17], exec, s[0:1]
	s_cbranch_execz .LBB5_7
; %bb.79:                               ;   in Loop: Header=BB5_8 Depth=1
	v_and_b32_e32 v16, 0x7fffffff, v3
	v_cmp_gt_u64_e32 vcc, s[14:15], v[16:17]
	s_and_saveexec_b64 s[0:1], vcc
	s_xor_b64 s[18:19], exec, s[0:1]
	s_cbranch_execz .LBB5_6
; %bb.80:                               ;   in Loop: Header=BB5_8 Depth=1
	v_cmp_ne_u32_e32 vcc, 0, v3
	v_pk_mov_b32 v[4:5], 0, 0
	s_and_saveexec_b64 s[20:21], vcc
	s_cbranch_execz .LBB5_5
; %bb.81:                               ;   in Loop: Header=BB5_8 Depth=1
	v_bfe_u32 v5, v3, 23, 8
	v_and_b32_e32 v4, 0x7fffff, v3
	v_sub_u32_e64 v7, s36, v5 clamp
	v_cmp_eq_u32_e32 vcc, 0, v5
	v_or_b32_e32 v8, 0x800000, v4
	v_cndmask_b32_e32 v7, v7, v32, vcc
	v_cndmask_b32_e32 v16, v8, v4, vcc
	v_add_u32_e32 v4, 20, v7
	v_add_u32_e32 v19, 0xffffff89, v5
	v_lshlrev_b64 v[4:5], v4, -1
	v_not_b32_e32 v4, v4
	v_add_u32_e32 v8, 19, v7
	v_and_b32_e32 v4, v16, v4
	v_mov_b32_e32 v5, v17
	v_lshlrev_b64 v[8:9], v8, 1
	v_cmp_eq_u64_e64 s[0:1], v[4:5], v[8:9]
	v_lshrrev_b64 v[4:5], v7, v[16:17]
	v_and_b32_e32 v16, 0x100000, v4
	v_cndmask_b32_e32 v8, v19, v33, vcc
	v_cmp_eq_u64_e32 vcc, 0, v[16:17]
	v_lshrrev_b32_e32 v9, 23, v4
	s_and_b64 vcc, vcc, s[0:1]
	v_add3_u32 v8, v8, v7, v9
	v_subbrev_co_u32_e32 v7, vcc, 0, v4, vcc
	v_and_b32_e32 v7, 0xfffff, v7
	v_add_co_u32_e32 v4, vcc, v7, v4
	v_add_u32_e32 v9, -1, v8
	v_addc_co_u32_e32 v5, vcc, 0, v5, vcc
	v_cmp_ne_u32_e32 vcc, 0, v9
                                        ; implicit-def: $vgpr7
	s_and_saveexec_b64 s[0:1], vcc
	s_xor_b64 s[0:1], exec, s[0:1]
; %bb.82:                               ;   in Loop: Header=BB5_8 Depth=1
	v_and_b32_e32 v16, 0x1000000, v4
	v_cmp_eq_u64_e32 vcc, 0, v[16:17]
	v_cndmask_b32_e32 v7, v8, v9, vcc
	v_bfe_u32 v8, v4, 24, 1
	v_lshrrev_b64 v[4:5], v8, v[4:5]
; %bb.83:                               ;   in Loop: Header=BB5_8 Depth=1
	s_andn2_saveexec_b64 s[0:1], s[0:1]
	s_cbranch_execz .LBB5_4
; %bb.84:                               ;   in Loop: Header=BB5_8 Depth=1
	v_bfe_u32 v7, v4, 23, 1
	s_branch .LBB5_4
.LBB5_85:
	s_or_b64 exec, exec, s[4:5]
	s_sub_i32 s0, 8, s24
	s_cmp_gt_i32 s44, s0
	s_cbranch_scc0 .LBB5_110
; %bb.86:
	v_add_u32_e32 v0, s0, v0
	v_cmp_gt_i32_e32 vcc, s44, v0
	s_and_saveexec_b64 s[0:1], vcc
	s_cbranch_execz .LBB5_110
; %bb.87:
	s_load_dword s2, s[2:3], 0xc
	s_ashr_i32 s45, s44, 31
	v_mov_b32_e32 v2, s45
	v_mov_b32_e32 v1, 0
	s_mov_b32 s33, 0
	s_waitcnt lgkmcnt(0)
	s_and_b32 s62, s2, 0xffff
	v_add_co_u32_e32 v4, vcc, s62, v0
	v_addc_co_u32_e64 v5, s[0:1], 0, 0, vcc
	v_cmp_gt_i64_e32 vcc, s[44:45], v[4:5]
	v_cndmask_b32_e32 v6, v5, v2, vcc
	v_mov_b32_e32 v2, s44
	v_cndmask_b32_e32 v3, v4, v2, vcc
	v_cndmask_b32_e64 v2, 0, 1, vcc
	v_add_co_u32_e32 v4, vcc, v4, v2
	v_addc_co_u32_e32 v5, vcc, 0, v5, vcc
	v_sub_co_u32_e32 v3, vcc, v3, v4
	v_cmp_gt_u16_e64 s[0:1], s2, 1
	v_subb_co_u32_e32 v5, vcc, v6, v5, vcc
	s_and_b64 s[0:1], s[0:1], exec
	v_mov_b32_e32 v4, v1
	s_cselect_b32 s0, 0, 0
	s_cselect_b32 s4, s62, 1
	v_cmp_ne_u64_e32 vcc, 0, v[4:5]
                                        ; implicit-def: $vgpr6_vgpr7
	s_and_saveexec_b64 s[2:3], vcc
	s_xor_b64 s[2:3], exec, s[2:3]
	s_cbranch_execz .LBB5_89
; %bb.88:
	v_cvt_f32_u32_e32 v4, s4
	v_mov_b32_e32 v6, 0x4f800000
	s_sub_u32 s1, 0, s4
	s_subb_u32 s0, 0, s0
	v_mac_f32_e32 v4, 0, v6
	v_rcp_f32_e32 v4, v4
	v_mul_f32_e32 v4, 0x5f7ffffc, v4
	v_mul_f32_e32 v6, 0x2f800000, v4
	v_trunc_f32_e32 v6, v6
	v_madmk_f32 v4, v6, 0xcf800000, v4
	v_cvt_u32_f32_e32 v6, v6
	v_cvt_u32_f32_e32 v4, v4
	v_mul_lo_u32 v7, s1, v6
	v_mul_hi_u32 v9, s1, v4
	v_mul_lo_u32 v8, s0, v4
	v_add_u32_e32 v7, v9, v7
	v_mul_lo_u32 v11, s1, v4
	v_add_u32_e32 v7, v7, v8
	v_mul_hi_u32 v9, v4, v11
	v_mul_lo_u32 v12, v4, v7
	v_mul_hi_u32 v8, v4, v7
	v_add_co_u32_e32 v9, vcc, v9, v12
	v_addc_co_u32_e32 v8, vcc, 0, v8, vcc
	v_mul_hi_u32 v13, v6, v11
	v_mul_lo_u32 v11, v6, v11
	v_add_co_u32_e32 v9, vcc, v9, v11
	v_mul_hi_u32 v12, v6, v7
	v_addc_co_u32_e32 v8, vcc, v8, v13, vcc
	v_addc_co_u32_e32 v9, vcc, 0, v12, vcc
	v_mul_lo_u32 v7, v6, v7
	v_add_co_u32_e32 v7, vcc, v8, v7
	v_addc_co_u32_e32 v8, vcc, 0, v9, vcc
	v_add_co_u32_e32 v4, vcc, v4, v7
	v_addc_co_u32_e32 v6, vcc, v6, v8, vcc
	v_mul_lo_u32 v7, s1, v6
	v_mul_hi_u32 v8, s1, v4
	v_add_u32_e32 v7, v8, v7
	v_mul_lo_u32 v8, s0, v4
	v_add_u32_e32 v7, v7, v8
	v_mul_lo_u32 v9, s1, v4
	v_mul_hi_u32 v11, v6, v9
	v_mul_lo_u32 v12, v6, v9
	v_mul_lo_u32 v14, v4, v7
	v_mul_hi_u32 v9, v4, v9
	v_mul_hi_u32 v13, v4, v7
	v_add_co_u32_e32 v9, vcc, v9, v14
	v_addc_co_u32_e32 v13, vcc, 0, v13, vcc
	v_add_co_u32_e32 v9, vcc, v9, v12
	v_mul_hi_u32 v8, v6, v7
	v_addc_co_u32_e32 v9, vcc, v13, v11, vcc
	v_addc_co_u32_e32 v8, vcc, 0, v8, vcc
	v_mul_lo_u32 v7, v6, v7
	v_add_co_u32_e32 v7, vcc, v9, v7
	v_addc_co_u32_e32 v8, vcc, 0, v8, vcc
	v_add_co_u32_e32 v4, vcc, v4, v7
	v_addc_co_u32_e32 v8, vcc, v6, v8, vcc
	v_mad_u64_u32 v[6:7], s[0:1], v3, v8, 0
	v_mul_hi_u32 v9, v3, v4
	v_add_co_u32_e32 v11, vcc, v9, v6
	v_addc_co_u32_e32 v12, vcc, 0, v7, vcc
	v_mad_u64_u32 v[6:7], s[0:1], v5, v8, 0
	v_mad_u64_u32 v[8:9], s[0:1], v5, v4, 0
	v_add_co_u32_e32 v4, vcc, v11, v8
	v_addc_co_u32_e32 v4, vcc, v12, v9, vcc
	v_addc_co_u32_e32 v7, vcc, 0, v7, vcc
	v_add_co_u32_e32 v11, vcc, v4, v6
	v_addc_co_u32_e32 v12, vcc, 0, v7, vcc
	v_mad_u64_u32 v[6:7], s[0:1], s4, v11, 0
	v_mov_b32_e32 v4, v7
	v_mad_u64_u32 v[8:9], s[0:1], s4, v12, v[4:5]
	v_sub_co_u32_e32 v3, vcc, v3, v6
	v_subb_co_u32_e32 v4, vcc, v5, v8, vcc
	v_subrev_co_u32_e32 v5, vcc, s4, v3
	v_subbrev_co_u32_e32 v6, vcc, 0, v4, vcc
	v_cmp_le_u32_e32 vcc, s4, v5
	v_cndmask_b32_e64 v5, 0, -1, vcc
	v_cmp_eq_u32_e32 vcc, 0, v6
	v_cndmask_b32_e32 v5, -1, v5, vcc
	v_add_co_u32_e32 v6, vcc, 2, v11
	v_addc_co_u32_e32 v7, vcc, 0, v12, vcc
	v_add_co_u32_e32 v8, vcc, 1, v11
	v_cmp_le_u32_e64 s[0:1], s4, v3
	v_addc_co_u32_e32 v9, vcc, 0, v12, vcc
	v_cndmask_b32_e64 v3, 0, -1, s[0:1]
	v_cmp_eq_u32_e64 s[0:1], 0, v4
	v_cmp_ne_u32_e32 vcc, 0, v5
	v_cndmask_b32_e64 v3, -1, v3, s[0:1]
	v_cndmask_b32_e32 v5, v9, v7, vcc
	v_cmp_ne_u32_e64 s[0:1], 0, v3
	v_cndmask_b32_e32 v3, v8, v6, vcc
	v_cndmask_b32_e64 v7, v12, v5, s[0:1]
	v_cndmask_b32_e64 v6, v11, v3, s[0:1]
                                        ; implicit-def: $vgpr3
.LBB5_89:
	s_andn2_saveexec_b64 s[0:1], s[2:3]
	s_cbranch_execz .LBB5_91
; %bb.90:
	v_cvt_f32_u32_e32 v4, s4
	s_sub_i32 s2, 0, s4
	v_mov_b32_e32 v7, 0
	v_rcp_iflag_f32_e32 v4, v4
	v_mul_f32_e32 v4, 0x4f7ffffe, v4
	v_cvt_u32_f32_e32 v4, v4
	v_mul_lo_u32 v5, s2, v4
	v_mul_hi_u32 v5, v4, v5
	v_add_u32_e32 v4, v4, v5
	v_mul_hi_u32 v4, v3, v4
	v_mul_lo_u32 v5, v4, s4
	v_sub_u32_e32 v3, v3, v5
	v_add_u32_e32 v6, 1, v4
	v_subrev_u32_e32 v5, s4, v3
	v_cmp_le_u32_e32 vcc, s4, v3
	v_cndmask_b32_e32 v3, v3, v5, vcc
	v_cndmask_b32_e32 v4, v4, v6, vcc
	v_add_u32_e32 v5, 1, v4
	v_cmp_le_u32_e32 vcc, s4, v3
	v_cndmask_b32_e32 v6, v4, v5, vcc
.LBB5_91:
	s_or_b64 exec, exec, s[0:1]
	v_add_co_u32_e32 v2, vcc, v6, v2
	v_addc_co_u32_e32 v3, vcc, 0, v7, vcc
	v_add_co_u32_e32 v2, vcc, 1, v2
	v_addc_co_u32_e32 v3, vcc, 0, v3, vcc
	v_cmp_gt_u64_e32 vcc, 4, v[2:3]
	v_cmp_ne_u16_e64 s[0:1], s62, 1
                                        ; kill: def $vgpr4_vgpr5 killed $sgpr0_sgpr1 killed $exec
	s_or_b64 s[4:5], vcc, s[0:1]
	s_mov_b64 s[48:49], 0
	v_mov_b32_e32 v5, v3
                                        ; implicit-def: $sgpr2_sgpr3
                                        ; implicit-def: $sgpr0_sgpr1
	s_and_saveexec_b64 s[8:9], s[4:5]
	s_xor_b64 s[4:5], exec, s[8:9]
; %bb.92:
	s_lshl_b64 s[0:1], s[6:7], 2
	s_or_b32 s0, s0, 2
	s_mul_i32 s2, s0, s23
	s_mul_hi_u32 s3, s0, s22
	s_add_i32 s2, s3, s2
	s_mul_i32 s1, s1, s22
	s_mov_b64 s[48:49], exec
	s_add_i32 s3, s2, s1
	s_mul_i32 s2, s0, s22
	s_lshl_b64 s[0:1], s[46:47], 2
                                        ; implicit-def: $vgpr2_vgpr3
                                        ; implicit-def: $vgpr5
; %bb.93:
	s_or_saveexec_b64 s[50:51], s[4:5]
	v_pk_mov_b32 v[6:7], s[2:3], s[2:3] op_sel:[0,1]
	v_pk_mov_b32 v[8:9], s[0:1], s[0:1] op_sel:[0,1]
	s_xor_b64 exec, exec, s[50:51]
	s_cbranch_execz .LBB5_97
; %bb.94:
	s_lshl_b64 s[0:1], s[6:7], 2
	s_or_b32 s0, s0, 2
	s_mul_i32 s3, s0, s23
	s_mul_hi_u32 s4, s0, s22
	s_add_i32 s3, s4, s3
	s_mul_i32 s1, s1, s22
	s_lshl_b64 s[52:53], s[46:47], 2
	v_lshlrev_b32_e32 v6, 1, v0
	s_lshl_b32 s63, s62, 3
	s_add_i32 s55, s3, s1
	v_mov_b32_e32 v7, s43
	v_add_co_u32_e32 v6, vcc, s42, v6
	s_mul_i32 s54, s0, s22
	s_add_u32 s0, s40, s46
	v_addc_co_u32_e32 v7, vcc, 0, v7, vcc
	s_addc_u32 s1, s41, s47
	v_and_b32_e32 v4, -4, v2
	s_mov_b32 s2, 0
	v_mov_b32_e32 v9, s1
	v_add_co_u32_e32 v8, vcc, s0, v0
	v_mov_b32_e32 v11, v10
	v_addc_co_u32_e32 v9, vcc, 0, v9, vcc
	s_lshl_b32 s64, s62, 2
	s_mov_b64 s[56:57], 0
	v_mov_b32_e32 v48, s53
	v_mov_b32_e32 v49, s55
	s_movk_i32 s65, 0x7fff
	v_mov_b32_e32 v50, 0x7fc00000
	s_mov_b32 s66, 0x3fb8aa3b
	s_mov_b32 s67, 0xc2ce8ed0
	;; [unrolled: 1-line block ×3, first 2 shown]
	v_mov_b32_e32 v51, 0x7f800000
	v_mov_b32_e32 v12, v10
	;; [unrolled: 1-line block ×3, first 2 shown]
	s_movk_i32 s69, 0x80
	s_mov_b64 s[58:59], 0x7f800000
	s_mov_b64 s[60:61], 0x43700001
	s_movk_i32 s70, 0x78
	v_mov_b32_e32 v52, 0x77
	v_mov_b32_e32 v53, 0xffffff8a
	s_movk_i32 s71, 0x7f
	v_mov_b32_e32 v54, s2
	v_mov_b32_e32 v55, s2
	;; [unrolled: 1-line block ×3, first 2 shown]
	v_pk_mov_b32 v[16:17], v[4:5], v[4:5] op_sel:[0,1]
.LBB5_95:                               ; =>This Inner Loop Header: Depth=1
	v_add_co_u32_e32 v32, vcc, s52, v6
	v_addc_co_u32_e32 v33, vcc, v7, v48, vcc
	v_add_co_u32_e32 v34, vcc, s54, v6
	v_addc_co_u32_e32 v35, vcc, v7, v49, vcc
	global_load_dwordx2 v[40:41], v[32:33], off
	global_load_dwordx2 v[42:43], v[34:35], off
	v_mov_b32_e32 v57, v15
	v_mov_b32_e32 v29, v15
	;; [unrolled: 1-line block ×10, first 2 shown]
	v_add_co_u32_e64 v16, s[10:11], -4, v16
	v_addc_co_u32_e64 v17, s[10:11], -1, v17, s[10:11]
	v_add_co_u32_e64 v6, s[10:11], s63, v6
	v_addc_co_u32_e64 v7, s[10:11], v7, v54, s[10:11]
	v_cmp_eq_u64_e64 s[10:11], 0, v[16:17]
	s_waitcnt vmcnt(1)
	v_and_b32_e32 v14, 0xffff0000, v40
	v_lshlrev_b32_e32 v18, 16, v40
	v_xor_b32_e32 v30, 0x80000000, v14
	v_and_b32_e32 v20, 0xffff0000, v41
	v_lshlrev_b32_e32 v22, 16, v41
	v_xor_b32_e32 v28, 0x80000000, v18
	v_bfe_u32 v32, v30, 16, 1
	v_xor_b32_e32 v24, 0x80000000, v22
	v_xor_b32_e32 v26, 0x80000000, v20
	v_bfe_u32 v33, v28, 16, 1
	v_add3_u32 v30, v30, v32, s65
	v_bfe_u32 v34, v26, 16, 1
	v_bfe_u32 v35, v24, 16, 1
	v_add3_u32 v28, v28, v33, s65
	v_and_b32_e32 v30, 0xffff0000, v30
	v_cmp_o_f32_e64 s[2:3], v14, v14
	v_add3_u32 v24, v24, v35, s65
	v_add3_u32 v26, v26, v34, s65
	v_and_b32_e32 v28, 0xffff0000, v28
	v_cmp_o_f32_e64 s[0:1], v18, v18
	v_cndmask_b32_e64 v30, v50, v30, s[2:3]
	v_and_b32_e32 v26, 0xffff0000, v26
	v_and_b32_e32 v24, 0xffff0000, v24
	v_cmp_o_f32_e32 vcc, v20, v20
	v_cmp_o_f32_e64 s[4:5], v22, v22
	v_cndmask_b32_e64 v28, v50, v28, s[0:1]
	v_mul_f32_e32 v32, 0x3fb8aa3b, v30
	v_cndmask_b32_e64 v24, v50, v24, s[4:5]
	v_cndmask_b32_e32 v26, v50, v26, vcc
	v_mul_f32_e32 v33, 0x3fb8aa3b, v28
	v_fma_f32 v36, v30, s66, -v32
	v_rndne_f32_e32 v38, v32
	v_mul_f32_e32 v34, 0x3fb8aa3b, v26
	v_mul_f32_e32 v35, 0x3fb8aa3b, v24
	v_fma_f32 v40, v28, s66, -v33
	v_rndne_f32_e32 v41, v33
	v_fmac_f32_e32 v36, 0x32a5705f, v30
	v_sub_f32_e32 v32, v32, v38
	v_fma_f32 v44, v26, s66, -v34
	v_rndne_f32_e32 v45, v34
	v_add_f32_e32 v32, v32, v36
	v_fma_f32 v36, v24, s66, -v35
	v_fmac_f32_e32 v40, 0x32a5705f, v28
	v_sub_f32_e32 v33, v33, v41
	v_rndne_f32_e32 v46, v35
	v_add_f32_e32 v40, v33, v40
	v_fmac_f32_e32 v44, 0x32a5705f, v26
	v_sub_f32_e32 v33, v34, v45
	v_fmac_f32_e32 v36, 0x32a5705f, v24
	v_sub_f32_e32 v34, v35, v46
	v_add_f32_e32 v35, v33, v44
	v_add_f32_e32 v34, v34, v36
	v_cvt_i32_f32_e32 v36, v38
	v_cvt_i32_f32_e32 v38, v41
	v_exp_f32_e32 v32, v32
	v_exp_f32_e32 v40, v40
	v_cvt_i32_f32_e32 v41, v45
	v_cvt_i32_f32_e32 v44, v46
	v_exp_f32_e32 v35, v35
	v_exp_f32_e32 v34, v34
	v_ldexp_f32 v32, v32, v36
	v_ldexp_f32 v36, v40, v38
	v_cmp_ngt_f32_e32 vcc, s67, v28
	v_cmp_ngt_f32_e64 s[4:5], s67, v30
	v_ldexp_f32 v35, v35, v41
	v_cmp_ngt_f32_e64 s[0:1], s67, v26
	v_ldexp_f32 v34, v34, v44
	v_cmp_ngt_f32_e64 s[2:3], s67, v24
	v_cndmask_b32_e64 v32, 0, v32, s[4:5]
	v_cndmask_b32_e32 v36, 0, v36, vcc
	v_cmp_nlt_f32_e32 vcc, s68, v28
	v_cmp_nlt_f32_e64 s[4:5], s68, v30
	v_cndmask_b32_e64 v28, 0, v35, s[0:1]
	v_cmp_nlt_f32_e64 s[0:1], s68, v26
	v_cndmask_b32_e64 v26, 0, v34, s[2:3]
	v_cndmask_b32_e64 v35, v51, v32, s[4:5]
	v_cndmask_b32_e32 v34, v51, v36, vcc
	v_pk_add_f32 v[34:35], v[34:35], 1.0 op_sel_hi:[1,0]
	v_cmp_nlt_f32_e64 s[2:3], s68, v24
	v_cndmask_b32_e64 v41, v51, v28, s[0:1]
	v_div_scale_f32 v24, s[0:1], v35, v35, v14
	v_rcp_f32_e32 v32, v24
	v_div_scale_f32 v28, s[0:1], v34, v34, v18
	v_rcp_f32_e32 v36, v28
	v_fma_f32 v38, -v24, v32, 1.0
	v_cndmask_b32_e64 v40, v51, v26, s[2:3]
	v_div_scale_f32 v26, vcc, v14, v35, v14
	v_fmac_f32_e32 v32, v38, v32
	v_pk_add_f32 v[46:47], v[40:41], 1.0 op_sel_hi:[1,0]
	v_fma_f32 v40, -v28, v36, 1.0
	v_mul_f32_e32 v38, v26, v32
	v_fmac_f32_e32 v36, v40, v36
	v_fma_f32 v40, -v24, v38, v26
	v_fmac_f32_e32 v38, v40, v32
	v_div_scale_f32 v30, s[0:1], v18, v34, v18
	v_fma_f32 v24, -v24, v38, v26
	v_div_fmas_f32 v24, v24, v32, v38
	v_mul_f32_e32 v32, v30, v36
	v_fma_f32 v38, -v28, v32, v30
	v_div_scale_f32 v40, s[2:3], v47, v47, v20
	v_fmac_f32_e32 v32, v38, v36
	v_div_scale_f32 v38, s[4:5], v46, v46, v22
	v_fma_f32 v28, -v28, v32, v30
	v_rcp_f32_e32 v30, v40
	s_mov_b64 vcc, s[0:1]
	v_div_fmas_f32 v28, v28, v36, v32
	v_rcp_f32_e32 v32, v38
	v_fma_f32 v36, -v40, v30, 1.0
	v_div_scale_f32 v26, s[2:3], v20, v47, v20
	v_fmac_f32_e32 v30, v36, v30
	v_fma_f32 v36, -v38, v32, 1.0
	v_fmac_f32_e32 v32, v36, v32
	v_div_scale_f32 v36, s[0:1], v22, v46, v22
	v_div_fixup_f32 v14, v24, v35, v14
	v_mul_f32_e32 v24, v26, v30
	v_div_fixup_f32 v18, v28, v34, v18
	v_mul_f32_e32 v28, v36, v32
	v_fma_f32 v34, -v40, v24, v26
	v_fma_f32 v35, -v38, v28, v36
	v_fmac_f32_e32 v24, v34, v30
	v_fmac_f32_e32 v28, v35, v32
	v_fma_f32 v26, -v40, v24, v26
	s_mov_b64 vcc, s[2:3]
	v_fma_f32 v34, -v38, v28, v36
	v_div_fmas_f32 v24, v26, v30, v24
	s_mov_b64 vcc, s[0:1]
	v_div_fmas_f32 v26, v34, v32, v28
	v_div_fixup_f32 v20, v24, v47, v20
	v_bfe_u32 v24, v14, 16, 1
	v_div_fixup_f32 v22, v26, v46, v22
	v_bfe_u32 v26, v18, 16, 1
	v_add3_u32 v24, v14, v24, s65
	v_cmp_o_f32_e32 vcc, v14, v14
	v_bfe_u32 v14, v20, 16, 1
	v_and_b32_e32 v24, 0xffff0000, v24
	v_add3_u32 v26, v18, v26, s65
	v_cmp_o_f32_e64 s[0:1], v18, v18
	v_bfe_u32 v18, v22, 16, 1
	v_add3_u32 v14, v20, v14, s65
	s_waitcnt vmcnt(0)
	v_and_b32_e32 v59, 0xffff0000, v43
	v_lshlrev_b32_e32 v58, 16, v43
	v_and_b32_e32 v26, 0xffff0000, v26
	v_cndmask_b32_e32 v43, v50, v24, vcc
	v_add3_u32 v18, v22, v18, s65
	v_and_b32_e32 v14, 0xffff0000, v14
	v_cmp_o_f32_e32 vcc, v20, v20
	v_and_b32_e32 v47, 0xffff0000, v42
	v_lshlrev_b32_e32 v46, 16, v42
	v_cndmask_b32_e64 v42, v50, v26, s[0:1]
	v_and_b32_e32 v18, 0xffff0000, v18
	v_cndmask_b32_e32 v61, v50, v14, vcc
	v_cmp_o_f32_e32 vcc, v22, v22
	v_pk_mul_f32 v[42:43], v[42:43], v[46:47]
	v_cndmask_b32_e32 v60, v50, v18, vcc
	v_bfe_u32 v14, v42, 16, 1
	v_bfe_u32 v18, v43, 16, 1
	v_pk_mul_f32 v[46:47], v[60:61], v[58:59]
	v_add3_u32 v18, v43, v18, s65
	v_add3_u32 v14, v42, v14, s65
	v_bfe_u32 v20, v46, 16, 1
	v_bfe_u32 v22, v47, 16, 1
	v_and_b32_e32 v14, 0xffff0000, v14
	v_and_b32_e32 v18, 0xffff0000, v18
	v_cmp_o_f32_e32 vcc, v42, v42
	v_cmp_o_f32_e64 s[0:1], v43, v43
	v_add3_u32 v22, v47, v22, s65
	v_add3_u32 v20, v46, v20, s65
	v_cndmask_b32_e64 v43, v50, v18, s[0:1]
	v_cndmask_b32_e32 v42, v50, v14, vcc
	v_and_b32_e32 v14, 0xffff0000, v20
	v_and_b32_e32 v18, 0xffff0000, v22
	v_cmp_o_f32_e32 vcc, v46, v46
	v_cmp_o_f32_e64 s[0:1], v47, v47
	v_pk_mul_f32 v[42:43], v[10:11], v[42:43]
	v_cndmask_b32_e64 v47, v50, v18, s[0:1]
	v_cndmask_b32_e32 v46, v50, v14, vcc
	v_min_f32_e32 v14, 0x43600000, v43
	v_min_f32_e32 v18, 0x43600000, v42
	v_pk_mul_f32 v[42:43], v[12:13], v[46:47]
	v_max_f32_e32 v20, 0xc3600000, v14
	v_min_f32_e32 v14, 0x43600000, v42
	v_bfe_u32 v26, v20, 23, 8
	v_max_f32_e32 v34, 0xc3600000, v14
	v_and_b32_e32 v22, 0x7fffff, v20
	v_sub_u32_e64 v28, s70, v26 clamp
	v_cmp_eq_u32_e64 s[6:7], 0, v26
	v_and_b32_e32 v14, 0x7f800000, v34
	v_or_b32_e32 v30, 0x800000, v22
	v_cndmask_b32_e64 v32, v28, v52, s[6:7]
	v_cmp_ne_u64_e64 s[4:5], s[58:59], v[14:15]
	v_and_b32_e32 v14, 0x7fffffff, v20
	v_cmp_gt_u64_e64 s[2:3], s[60:61], v[14:15]
	v_cndmask_b32_e64 v14, v30, v22, s[6:7]
	v_add_u32_e32 v22, 20, v32
	v_lshlrev_b64 v[46:47], v22, -1
	v_max_f32_e32 v18, 0xc3600000, v18
	v_not_b32_e32 v22, v46
	v_add_u32_e32 v28, 19, v32
	v_and_b32_e32 v56, v14, v22
	v_bfe_u32 v22, v18, 23, 8
	v_and_b32_e32 v24, 0x7fffff, v18
	v_lshlrev_b64 v[46:47], v28, 1
	v_sub_u32_e64 v28, s70, v22 clamp
	v_cmp_eq_u32_e64 s[8:9], 0, v22
	v_or_b32_e32 v30, 0x800000, v24
	v_cndmask_b32_e64 v40, v28, v52, s[8:9]
	v_cndmask_b32_e64 v30, v30, v24, s[8:9]
	v_add_u32_e32 v24, 20, v40
	v_cmp_eq_u64_e32 vcc, v[56:57], v[46:47]
	v_lshlrev_b64 v[46:47], v24, -1
	v_add_u32_e32 v28, 19, v40
	v_not_b32_e32 v24, v46
	v_lshlrev_b64 v[46:47], v28, 1
	v_and_b32_e32 v44, v30, v24
	v_min_f32_e32 v24, 0x43600000, v43
	v_and_b32_e32 v28, 0x7fffffff, v18
	v_and_b32_e32 v38, 0x7f800000, v20
	v_cmp_gt_u64_e64 s[16:17], s[60:61], v[28:29]
	v_max_f32_e32 v29, 0xc3600000, v24
	v_cmp_ne_u64_e64 s[12:13], s[58:59], v[38:39]
	v_and_b32_e32 v36, 0x7f800000, v18
	v_add_u32_e32 v38, 0xffffff89, v26
	v_and_b32_e32 v26, 0x7fffffff, v29
	v_cmp_ne_u64_e64 s[14:15], s[58:59], v[36:37]
	v_and_b32_sdwa v56, v18, s69 dst_sel:DWORD dst_unused:UNUSED_PAD src0_sel:BYTE_3 src1_sel:DWORD
	v_and_b32_sdwa v57, v20, s69 dst_sel:DWORD dst_unused:UNUSED_PAD src0_sel:BYTE_3 src1_sel:DWORD
	v_cmp_eq_u32_e64 s[18:19], 0, v18
	v_cmp_eq_u32_e64 s[20:21], 0, v20
	v_cmp_ne_u32_e64 s[22:23], 0, v18
	v_cmp_ne_u32_e64 s[24:25], 0, v20
	v_or_b32_sdwa v36, v20, s71 dst_sel:DWORD dst_unused:UNUSED_PAD src0_sel:BYTE_3 src1_sel:DWORD
	v_or_b32_sdwa v28, v18, s71 dst_sel:DWORD dst_unused:UNUSED_PAD src0_sel:BYTE_3 src1_sel:DWORD
	v_and_b32_e32 v20, 0x7f800000, v29
	v_and_b32_e32 v18, 0x7fffff, v29
	v_cmp_gt_u64_e64 s[28:29], s[60:61], v[26:27]
	v_bfe_u32 v27, v29, 23, 8
	v_add_u32_e32 v42, 0xffffff89, v22
	v_cmp_ne_u64_e64 s[26:27], s[58:59], v[20:21]
	v_and_b32_e32 v20, 0x7fffff, v34
	v_bfe_u32 v26, v34, 23, 8
	v_sub_u32_e64 v21, s70, v27 clamp
	v_or_b32_e32 v22, 0x800000, v18
	v_cmp_eq_u32_e64 s[34:35], 0, v27
	v_and_b32_e32 v24, 0x7fffffff, v34
	v_cndmask_b32_e64 v58, v21, v52, s[34:35]
	v_cndmask_b32_e64 v18, v22, v18, s[34:35]
	v_sub_u32_e64 v21, s70, v26 clamp
	v_or_b32_e32 v22, 0x800000, v20
	v_cmp_eq_u32_e64 s[36:37], 0, v26
	v_cmp_gt_u64_e64 s[30:31], s[60:61], v[24:25]
	v_cndmask_b32_e64 v59, v21, v52, s[36:37]
	v_cndmask_b32_e64 v22, v22, v20, s[36:37]
	v_lshrrev_b64 v[20:21], v40, v[30:31]
	s_and_b64 s[72:73], s[14:15], s[16:17]
	v_cndmask_b32_e64 v24, v42, v53, s[8:9]
	v_lshrrev_b32_e32 v25, 23, v20
	v_cmp_eq_u32_e64 s[8:9], 0, v34
	v_cmp_eq_u32_e64 s[14:15], 0, v29
	v_cndmask_b32_e64 v30, v38, v53, s[6:7]
	s_and_b64 s[6:7], s[72:73], s[18:19]
	s_and_b64 s[4:5], s[4:5], s[30:31]
	;; [unrolled: 1-line block ×3, first 2 shown]
	v_add3_u32 v42, v24, v40, v25
	v_or_b32_sdwa v24, v29, s71 dst_sel:DWORD dst_unused:UNUSED_PAD src0_sel:BYTE_3 src1_sel:DWORD
	v_or_b32_sdwa v25, v34, s71 dst_sel:DWORD dst_unused:UNUSED_PAD src0_sel:BYTE_3 src1_sel:DWORD
	v_cndmask_b32_e64 v62, v28, 0, s[6:7]
	s_and_b64 s[6:7], s[72:73], s[22:23]
	s_and_b64 s[22:23], s[12:13], s[2:3]
	;; [unrolled: 1-line block ×4, first 2 shown]
	v_mov_b32_e32 v45, v15
	v_add_u32_e32 v27, 0xffffff89, v27
	v_add_u32_e32 v26, 0xffffff89, v26
	v_cndmask_b32_e64 v63, v24, 0, s[2:3]
	v_cndmask_b32_e64 v64, v25, 0, s[8:9]
	v_lshrrev_b64 v[24:25], v32, v[14:15]
	v_cmp_eq_u64_e64 s[0:1], v[44:45], v[46:47]
	v_mov_b32_e32 v47, v15
	v_and_b32_sdwa v60, v34, s69 dst_sel:DWORD dst_unused:UNUSED_PAD src0_sel:BYTE_3 src1_sel:DWORD
	v_cmp_ne_u32_e64 s[16:17], 0, v34
	v_cndmask_b32_e64 v31, v26, v53, s[36:37]
	v_cndmask_b32_e64 v34, v27, v53, s[34:35]
	v_and_b32_e32 v46, 0x100000, v20
	v_lshrrev_b32_e32 v14, 23, v24
	v_lshrrev_b64 v[26:27], v58, v[18:19]
	v_cmp_eq_u64_e64 s[12:13], 0, v[46:47]
	v_add3_u32 v46, v30, v32, v14
	v_add_u32_e32 v14, 20, v59
	v_and_b32_e32 v44, 0x100000, v24
	v_lshrrev_b32_e32 v19, 23, v26
	v_and_b32_sdwa v61, v29, s69 dst_sel:DWORD dst_unused:UNUSED_PAD src0_sel:BYTE_3 src1_sel:DWORD
	v_cmp_ne_u32_e64 s[38:39], 0, v29
	v_cmp_eq_u64_e64 s[14:15], 0, v[44:45]
	v_lshlrev_b64 v[28:29], v14, -1
	v_add3_u32 v44, v34, v58, v19
	v_add_u32_e32 v19, 20, v58
	v_not_b32_e32 v14, v28
	v_lshlrev_b64 v[28:29], v19, -1
	v_mov_b32_e32 v41, v15
	v_add_u32_e32 v34, 19, v58
	v_and_b32_e32 v32, v22, v14
	v_lshrrev_b64 v[22:23], v59, v[22:23]
	v_and_b32_e32 v40, 0x100000, v26
	v_not_b32_e32 v19, v28
	s_and_b64 vcc, s[14:15], vcc
	s_and_b64 s[4:5], s[4:5], s[16:17]
	v_lshrrev_b32_e32 v14, 23, v22
	v_cmp_eq_u64_e64 s[16:17], 0, v[40:41]
	v_lshlrev_b64 v[40:41], v34, 1
	v_and_b32_e32 v34, v18, v19
	v_subbrev_co_u32_e32 v18, vcc, 0, v24, vcc
	v_add3_u32 v45, v31, v59, v14
	v_add_u32_e32 v14, 19, v59
	s_and_b64 vcc, s[12:13], s[0:1]
	v_mov_b32_e32 v33, v15
	v_lshlrev_b64 v[30:31], v14, 1
	v_and_b32_e32 v14, 0x100000, v22
	v_subbrev_co_u32_e32 v19, vcc, 0, v20, vcc
	s_and_b64 s[2:3], s[18:19], s[38:39]
	v_cmp_eq_u64_e64 s[18:19], 0, v[14:15]
	v_cmp_eq_u64_e32 vcc, v[32:33], v[30:31]
	s_and_b64 vcc, s[18:19], vcc
	v_mov_b32_e32 v35, v15
	v_and_b32_e32 v18, 0xfffff, v18
	v_subbrev_co_u32_e32 v32, vcc, 0, v22, vcc
	v_cmp_eq_u64_e64 s[14:15], v[34:35], v[40:41]
	v_add_co_u32_e32 v18, vcc, v18, v24
	v_and_b32_e32 v30, 0xfffff, v19
	s_and_b64 s[14:15], s[16:17], s[14:15]
	v_addc_co_u32_e32 v19, vcc, 0, v25, vcc
	v_subbrev_co_u32_e64 v31, s[14:15], 0, v26, s[14:15]
	v_add_co_u32_e32 v20, vcc, v30, v20
	v_addc_co_u32_e32 v21, vcc, 0, v21, vcc
	v_and_b32_e32 v24, 0xfffff, v31
	v_add_co_u32_e32 v24, vcc, v24, v26
	v_and_b32_e32 v30, 0xfffff, v32
	v_addc_co_u32_e32 v25, vcc, 0, v27, vcc
	v_add_co_u32_e32 v22, vcc, v30, v22
	s_and_b64 s[8:9], s[22:23], s[20:21]
	v_add_u32_e32 v28, -1, v42
	v_and_b32_e32 v38, 0x1000000, v20
	v_addc_co_u32_e32 v23, vcc, 0, v23, vcc
	v_cndmask_b32_e64 v47, v36, 0, s[8:9]
	v_cmp_ne_u32_e64 s[20:21], 0, v28
	v_add_u32_e32 v14, -1, v46
	v_and_b32_e32 v36, 0x1000000, v18
	v_cmp_eq_u64_e32 vcc, 0, v[38:39]
	s_and_b64 s[8:9], s[22:23], s[24:25]
	v_cmp_ne_u32_e64 s[0:1], 0, v14
	v_bfe_u32 v31, v20, 23, 1
	v_cndmask_b32_e32 v26, v42, v28, vcc
	s_and_b64 vcc, s[6:7], s[20:21]
	v_cmp_eq_u64_e64 s[14:15], 0, v[36:37]
	v_mov_b32_e32 v43, v15
	v_add_u32_e32 v29, -1, v45
	v_add_u32_e32 v58, -1, v44
	v_bfe_u32 v32, v18, 23, 1
	v_cndmask_b32_e64 v27, v46, v14, s[14:15]
	s_and_b64 s[0:1], s[8:9], s[0:1]
	v_and_b32_e32 v14, 0x1000000, v22
	v_and_b32_e32 v42, 0x1000000, v24
	v_cndmask_b32_e32 v26, v31, v26, vcc
	v_cndmask_b32_e64 v31, 0, 1, vcc
	v_cmp_ne_u32_e64 s[12:13], 0, v58
	v_cmp_ne_u32_e64 s[22:23], 0, v29
	v_cndmask_b32_e64 v27, v32, v27, s[0:1]
	v_cndmask_b32_e64 v32, 0, 1, s[0:1]
	v_cmp_eq_u64_e32 vcc, 0, v[14:15]
	v_cmp_eq_u64_e64 s[0:1], 0, v[42:43]
	v_and_b32_sdwa v31, v31, v20 dst_sel:DWORD dst_unused:UNUSED_PAD src0_sel:DWORD src1_sel:BYTE_3
	v_bfe_u32 v28, v22, 23, 1
	v_bfe_u32 v30, v24, 23, 1
	v_cndmask_b32_e32 v14, v45, v29, vcc
	s_and_b64 vcc, s[4:5], s[22:23]
	v_cndmask_b32_e64 v29, v44, v58, s[0:1]
	v_and_b32_sdwa v32, v32, v18 dst_sel:DWORD dst_unused:UNUSED_PAD src0_sel:DWORD src1_sel:BYTE_3
	s_and_b64 s[12:13], s[2:3], s[12:13]
	v_lshrrev_b64 v[20:21], v31, v[20:21]
	v_cndmask_b32_e64 v29, v30, v29, s[12:13]
	v_cndmask_b32_e32 v14, v28, v14, vcc
	v_cndmask_b32_e64 v28, 0, 1, vcc
	v_cndmask_b32_e64 v30, 0, 1, s[12:13]
	v_lshrrev_b64 v[18:19], v32, v[18:19]
	v_lshrrev_b64 v[20:21], 20, v[20:21]
	v_cmp_gt_i32_e32 vcc, 16, v26
	v_min_i32_e32 v33, 15, v26
	v_and_b32_sdwa v30, v30, v24 dst_sel:DWORD dst_unused:UNUSED_PAD src0_sel:DWORD src1_sel:BYTE_3
	v_lshrrev_b64 v[18:19], 20, v[18:19]
	v_cmp_gt_i32_e64 s[18:19], 16, v27
	v_cndmask_b32_e32 v21, 0, v21, vcc
	v_cndmask_b32_e32 v20, 7, v20, vcc
	v_min_i32_e32 v34, 15, v27
	v_cmp_eq_u32_e64 s[0:1], 0, v26
	v_lshl_or_b32 v32, v33, 3, v56
	v_and_b32_sdwa v28, v28, v22 dst_sel:DWORD dst_unused:UNUSED_PAD src0_sel:DWORD src1_sel:BYTE_3
	v_lshrrev_b64 v[24:25], v30, v[24:25]
	v_cndmask_b32_e64 v19, 0, v19, s[18:19]
	v_cndmask_b32_e64 v18, 7, v18, s[18:19]
	v_cmp_eq_u64_e64 s[18:19], 0, v[20:21]
	v_cmp_eq_u32_e64 s[14:15], 0, v27
	v_lshl_or_b32 v31, v34, 3, v57
	v_min_i32_e32 v33, 15, v14
	v_cmp_eq_u32_e64 s[12:13], 0, v14
	v_lshrrev_b64 v[22:23], v28, v[22:23]
	v_lshrrev_b64 v[24:25], 20, v[24:25]
	v_cmp_gt_i32_e32 vcc, 16, v14
	v_cmp_eq_u64_e64 s[20:21], 0, v[18:19]
	v_and_or_b32 v14, v20, 7, v32
	v_cmp_gt_i32_e64 s[22:23], 16, v29
	s_and_b64 s[0:1], s[0:1], s[18:19]
	v_min_i32_e32 v34, 15, v29
	v_lshrrev_b64 v[22:23], 20, v[22:23]
	v_and_or_b32 v28, v18, 7, v31
	v_cndmask_b32_e64 v19, 0, v25, s[22:23]
	v_cndmask_b32_e64 v18, 7, v24, s[22:23]
	;; [unrolled: 1-line block ×3, first 2 shown]
	s_and_b64 s[0:1], s[14:15], s[20:21]
	v_cmp_eq_u32_e64 s[16:17], 0, v29
	v_lshl_or_b32 v26, v34, 3, v61
	v_cndmask_b32_e32 v21, 0, v23, vcc
	v_cndmask_b32_e32 v20, 7, v22, vcc
	v_cndmask_b32_e64 v22, v28, 0, s[0:1]
	v_cmp_eq_u64_e64 s[0:1], 0, v[18:19]
	v_lshl_or_b32 v27, v33, 3, v60
	v_cmp_eq_u64_e32 vcc, 0, v[20:21]
	v_and_or_b32 v18, v18, 7, v26
	s_and_b64 s[0:1], s[16:17], s[0:1]
	v_and_or_b32 v19, v20, 7, v27
	v_cndmask_b32_e64 v14, v62, v14, s[6:7]
	s_and_b64 s[6:7], s[12:13], vcc
	v_cndmask_b32_e64 v18, v18, 0, s[0:1]
	v_cndmask_b32_e64 v20, v47, v22, s[8:9]
	;; [unrolled: 1-line block ×4, first 2 shown]
	v_lshlrev_b16_e32 v20, 8, v20
	v_cndmask_b32_e64 v19, v64, v19, s[4:5]
	v_lshlrev_b16_e32 v18, 8, v18
	v_or_b32_sdwa v14, v14, v20 dst_sel:DWORD dst_unused:UNUSED_PAD src0_sel:BYTE_0 src1_sel:DWORD
	v_or_b32_sdwa v18, v19, v18 dst_sel:WORD_1 dst_unused:UNUSED_PAD src0_sel:BYTE_0 src1_sel:DWORD
	v_or_b32_sdwa v14, v14, v18 dst_sel:DWORD dst_unused:UNUSED_PAD src0_sel:WORD_0 src1_sel:DWORD
	global_store_dword v[8:9], v14, off
	v_add_co_u32_e32 v8, vcc, s64, v8
	s_or_b64 s[56:57], s[10:11], s[56:57]
	v_addc_co_u32_e32 v9, vcc, v9, v55, vcc
	s_andn2_b64 exec, exec, s[56:57]
	s_cbranch_execnz .LBB5_95
; %bb.96:
	s_or_b64 exec, exec, s[56:57]
	v_mad_u64_u32 v[0:1], s[0:1], v4, s62, v[0:1]
	v_mov_b32_e32 v6, v1
	v_mad_u64_u32 v[6:7], s[0:1], v5, s62, v[6:7]
	v_cmp_ne_u64_e32 vcc, v[2:3], v[4:5]
	s_andn2_b64 s[0:1], s[48:49], exec
	s_and_b64 s[2:3], vcc, exec
	v_mov_b32_e32 v1, v6
	v_pk_mov_b32 v[6:7], s[54:55], s[54:55] op_sel:[0,1]
	v_pk_mov_b32 v[8:9], s[52:53], s[52:53] op_sel:[0,1]
	s_or_b64 s[48:49], s[0:1], s[2:3]
.LBB5_97:
	s_or_b64 exec, exec, s[50:51]
	s_and_b64 exec, exec, s[48:49]
	s_cbranch_execz .LBB5_110
; %bb.98:
	v_lshlrev_b64 v[2:3], 1, v[0:1]
	s_add_u32 s14, s40, s46
	v_mov_b32_e32 v4, s43
	v_add_co_u32_e32 v2, vcc, s42, v2
	s_addc_u32 s15, s41, s47
	v_addc_co_u32_e32 v3, vcc, v4, v3, vcc
	s_lshl_b32 s16, s62, 1
	s_mov_b32 s17, 0
	s_mov_b64 s[2:3], 0
	s_movk_i32 s18, 0x7fff
	v_mov_b32_e32 v11, 0x7fc00000
	s_mov_b32 s19, 0x3fb8aa3b
	s_mov_b32 s20, 0xc2ce8ed0
	;; [unrolled: 1-line block ×3, first 2 shown]
	v_mov_b32_e32 v14, 0x7f800000
	v_mov_b32_e32 v5, 0
	s_movk_i32 s22, 0x7f
	s_mov_b64 s[4:5], 0x7f800000
	s_mov_b64 s[6:7], 0x43700001
	s_movk_i32 s23, 0x78
	s_movk_i32 s24, 0x80
	v_mov_b32_e32 v15, 0x77
	v_mov_b32_e32 v16, 0xffffff8a
	s_branch .LBB5_103
.LBB5_99:                               ;   in Loop: Header=BB5_103 Depth=1
	s_or_b64 exec, exec, s[0:1]
	v_lshrrev_b64 v[12:13], 20, v[12:13]
	v_cmp_gt_i32_e32 vcc, 16, v4
	v_and_b32_sdwa v17, v17, s24 dst_sel:DWORD dst_unused:UNUSED_PAD src0_sel:BYTE_3 src1_sel:DWORD
	v_min_i32_e32 v18, 15, v4
	v_cndmask_b32_e32 v13, 0, v13, vcc
	v_cndmask_b32_e32 v12, 7, v12, vcc
	v_cmp_eq_u32_e32 vcc, 0, v4
	v_cmp_eq_u64_e64 s[0:1], 0, v[12:13]
	v_lshl_or_b32 v4, v18, 3, v17
	v_and_or_b32 v4, v12, 7, v4
	s_and_b64 s[0:1], vcc, s[0:1]
	v_cndmask_b32_e64 v12, v4, 0, s[0:1]
.LBB5_100:                              ;   in Loop: Header=BB5_103 Depth=1
	s_or_b64 exec, exec, s[12:13]
.LBB5_101:                              ;   in Loop: Header=BB5_103 Depth=1
	s_andn2_saveexec_b64 s[0:1], s[10:11]
	s_or_b64 exec, exec, s[0:1]
.LBB5_102:                              ;   in Loop: Header=BB5_103 Depth=1
	s_andn2_saveexec_b64 s[0:1], s[8:9]
	s_or_b64 exec, exec, s[0:1]
	v_mov_b32_e32 v4, s15
	v_add_co_u32_e32 v18, vcc, s14, v0
	v_addc_co_u32_e32 v19, vcc, v4, v1, vcc
	v_mov_b32_e32 v4, s33
	v_add_co_u32_e32 v0, vcc, s62, v0
	v_addc_co_u32_e32 v1, vcc, v1, v4, vcc
	v_cmp_le_i64_e32 vcc, s[44:45], v[0:1]
	v_mov_b32_e32 v4, s17
	s_or_b64 s[2:3], vcc, s[2:3]
	v_add_co_u32_e32 v2, vcc, s16, v2
	v_addc_co_u32_e32 v3, vcc, v3, v4, vcc
	global_store_byte v[18:19], v12, off
	s_andn2_b64 exec, exec, s[2:3]
	s_cbranch_execz .LBB5_110
.LBB5_103:                              ; =>This Inner Loop Header: Depth=1
	v_add_co_u32_e32 v12, vcc, v2, v8
	v_addc_co_u32_e32 v13, vcc, v3, v9, vcc
	global_load_ushort v4, v[12:13], off
	v_add_co_u32_e32 v12, vcc, v2, v6
	v_addc_co_u32_e32 v13, vcc, v3, v7, vcc
	global_load_ushort v12, v[12:13], off
	s_waitcnt vmcnt(1)
	v_lshlrev_b32_e32 v4, 16, v4
	v_xor_b32_e32 v13, 0x80000000, v4
	v_bfe_u32 v17, v13, 16, 1
	v_add3_u32 v13, v13, v17, s18
	v_and_b32_e32 v13, 0xffff0000, v13
	v_cmp_o_f32_e32 vcc, v4, v4
	v_cndmask_b32_e32 v13, v11, v13, vcc
	v_mul_f32_e32 v17, 0x3fb8aa3b, v13
	v_fma_f32 v18, v13, s19, -v17
	v_rndne_f32_e32 v19, v17
	v_fmac_f32_e32 v18, 0x32a5705f, v13
	v_sub_f32_e32 v17, v17, v19
	v_add_f32_e32 v17, v17, v18
	v_cvt_i32_f32_e32 v19, v19
	v_exp_f32_e32 v17, v17
	v_cmp_ngt_f32_e32 vcc, s20, v13
	s_waitcnt vmcnt(0)
	v_lshlrev_b32_e32 v12, 16, v12
	v_ldexp_f32 v17, v17, v19
	v_cndmask_b32_e32 v17, 0, v17, vcc
	v_cmp_nlt_f32_e32 vcc, s21, v13
	v_cndmask_b32_e32 v13, v14, v17, vcc
	v_add_f32_e32 v13, 1.0, v13
	v_div_scale_f32 v17, s[0:1], v13, v13, v4
	v_rcp_f32_e32 v18, v17
	v_div_scale_f32 v19, vcc, v4, v13, v4
	v_fma_f32 v20, -v17, v18, 1.0
	v_fmac_f32_e32 v18, v20, v18
	v_mul_f32_e32 v20, v19, v18
	v_fma_f32 v21, -v17, v20, v19
	v_fmac_f32_e32 v20, v21, v18
	v_fma_f32 v17, -v17, v20, v19
	v_div_fmas_f32 v17, v17, v18, v20
	v_div_fixup_f32 v4, v17, v13, v4
	v_bfe_u32 v13, v4, 16, 1
	v_add3_u32 v13, v4, v13, s18
	v_and_b32_e32 v13, 0xffff0000, v13
	v_cmp_o_f32_e32 vcc, v4, v4
	v_cndmask_b32_e32 v4, v11, v13, vcc
	v_mul_f32_e32 v4, v4, v12
	v_bfe_u32 v12, v4, 16, 1
	v_add3_u32 v12, v4, v12, s18
	v_and_b32_e32 v12, 0xffff0000, v12
	v_cmp_o_f32_e32 vcc, v4, v4
	v_cndmask_b32_e32 v4, v11, v12, vcc
	v_mul_f32_e32 v4, v10, v4
	v_min_f32_e32 v4, 0x43600000, v4
	v_max_f32_e32 v17, 0xc3600000, v4
	v_and_b32_e32 v4, 0x7f800000, v17
	v_or_b32_sdwa v12, v17, s22 dst_sel:DWORD dst_unused:UNUSED_PAD src0_sel:BYTE_3 src1_sel:DWORD
	v_cmp_ne_u64_e32 vcc, s[4:5], v[4:5]
                                        ; kill: def $vgpr4 killed $sgpr0 killed $exec
	s_and_saveexec_b64 s[0:1], vcc
	s_xor_b64 s[8:9], exec, s[0:1]
	s_cbranch_execz .LBB5_102
; %bb.104:                              ;   in Loop: Header=BB5_103 Depth=1
	v_and_b32_e32 v4, 0x7fffffff, v17
	v_cmp_gt_u64_e32 vcc, s[6:7], v[4:5]
                                        ; kill: def $vgpr4 killed $sgpr0 killed $exec
	s_and_saveexec_b64 s[0:1], vcc
	s_xor_b64 s[10:11], exec, s[0:1]
	s_cbranch_execz .LBB5_101
; %bb.105:                              ;   in Loop: Header=BB5_103 Depth=1
	v_cmp_ne_u32_e32 vcc, 0, v17
	v_mov_b32_e32 v12, 0
	s_and_saveexec_b64 s[12:13], vcc
	s_cbranch_execz .LBB5_100
; %bb.106:                              ;   in Loop: Header=BB5_103 Depth=1
	v_bfe_u32 v12, v17, 23, 8
	v_sub_u32_e64 v13, s23, v12 clamp
	v_cmp_eq_u32_e32 vcc, 0, v12
	v_cndmask_b32_e32 v21, v13, v15, vcc
	v_and_b32_e32 v4, 0x7fffff, v17
	v_add_u32_e32 v20, 0xffffff89, v12
	v_add_u32_e32 v12, 20, v21
	v_or_b32_e32 v18, 0x800000, v4
	v_lshlrev_b64 v[12:13], v12, -1
	v_cndmask_b32_e32 v4, v18, v4, vcc
	v_not_b32_e32 v12, v12
	v_add_u32_e32 v18, 19, v21
	v_and_b32_e32 v12, v4, v12
	v_mov_b32_e32 v13, v5
	v_lshlrev_b64 v[18:19], v18, 1
	v_cmp_eq_u64_e64 s[0:1], v[12:13], v[18:19]
	v_lshrrev_b64 v[12:13], v21, v[4:5]
	v_cndmask_b32_e32 v4, v20, v16, vcc
	v_lshrrev_b32_e32 v18, 23, v12
	v_add3_u32 v18, v4, v21, v18
	v_and_b32_e32 v4, 0x100000, v12
	v_cmp_eq_u64_e32 vcc, 0, v[4:5]
	s_and_b64 vcc, vcc, s[0:1]
	v_subbrev_co_u32_e32 v4, vcc, 0, v12, vcc
	v_and_b32_e32 v4, 0xfffff, v4
	v_add_co_u32_e32 v12, vcc, v4, v12
	v_add_u32_e32 v19, -1, v18
	v_addc_co_u32_e32 v13, vcc, 0, v13, vcc
	v_cmp_ne_u32_e32 vcc, 0, v19
                                        ; implicit-def: $vgpr4
	s_and_saveexec_b64 s[0:1], vcc
	s_xor_b64 s[0:1], exec, s[0:1]
; %bb.107:                              ;   in Loop: Header=BB5_103 Depth=1
	v_and_b32_e32 v4, 0x1000000, v12
	v_cmp_eq_u64_e32 vcc, 0, v[4:5]
	v_cndmask_b32_e32 v4, v18, v19, vcc
	v_bfe_u32 v18, v12, 24, 1
	v_lshrrev_b64 v[12:13], v18, v[12:13]
; %bb.108:                              ;   in Loop: Header=BB5_103 Depth=1
	s_andn2_saveexec_b64 s[0:1], s[0:1]
	s_cbranch_execz .LBB5_99
; %bb.109:                              ;   in Loop: Header=BB5_103 Depth=1
	v_bfe_u32 v4, v12, 23, 1
	s_branch .LBB5_99
.LBB5_110:
	s_endpgm
	.section	.rodata,"a",@progbits
	.p2align	6, 0x0
	.amdhsa_kernel _ZN4vllm24act_and_mul_quant_kernelIN3c108BFloat16ETnPFT_RKS3_EXadL_ZNS_11silu_kernelIS2_EES3_S5_EENS1_15Float8_e4m3fnuzEEEvPT1_PS4_PKfi
		.amdhsa_group_segment_fixed_size 0
		.amdhsa_private_segment_fixed_size 0
		.amdhsa_kernarg_size 288
		.amdhsa_user_sgpr_count 6
		.amdhsa_user_sgpr_private_segment_buffer 1
		.amdhsa_user_sgpr_dispatch_ptr 0
		.amdhsa_user_sgpr_queue_ptr 0
		.amdhsa_user_sgpr_kernarg_segment_ptr 1
		.amdhsa_user_sgpr_dispatch_id 0
		.amdhsa_user_sgpr_flat_scratch_init 0
		.amdhsa_user_sgpr_kernarg_preload_length 0
		.amdhsa_user_sgpr_kernarg_preload_offset 0
		.amdhsa_user_sgpr_private_segment_size 0
		.amdhsa_uses_dynamic_stack 0
		.amdhsa_system_sgpr_private_segment_wavefront_offset 0
		.amdhsa_system_sgpr_workgroup_id_x 1
		.amdhsa_system_sgpr_workgroup_id_y 1
		.amdhsa_system_sgpr_workgroup_id_z 0
		.amdhsa_system_sgpr_workgroup_info 0
		.amdhsa_system_vgpr_workitem_id 0
		.amdhsa_next_free_vgpr 65
		.amdhsa_next_free_sgpr 74
		.amdhsa_accum_offset 68
		.amdhsa_reserve_vcc 1
		.amdhsa_reserve_flat_scratch 0
		.amdhsa_float_round_mode_32 0
		.amdhsa_float_round_mode_16_64 0
		.amdhsa_float_denorm_mode_32 3
		.amdhsa_float_denorm_mode_16_64 3
		.amdhsa_dx10_clamp 1
		.amdhsa_ieee_mode 1
		.amdhsa_fp16_overflow 0
		.amdhsa_tg_split 0
		.amdhsa_exception_fp_ieee_invalid_op 0
		.amdhsa_exception_fp_denorm_src 0
		.amdhsa_exception_fp_ieee_div_zero 0
		.amdhsa_exception_fp_ieee_overflow 0
		.amdhsa_exception_fp_ieee_underflow 0
		.amdhsa_exception_fp_ieee_inexact 0
		.amdhsa_exception_int_div_zero 0
	.end_amdhsa_kernel
	.section	.text._ZN4vllm24act_and_mul_quant_kernelIN3c108BFloat16ETnPFT_RKS3_EXadL_ZNS_11silu_kernelIS2_EES3_S5_EENS1_15Float8_e4m3fnuzEEEvPT1_PS4_PKfi,"axG",@progbits,_ZN4vllm24act_and_mul_quant_kernelIN3c108BFloat16ETnPFT_RKS3_EXadL_ZNS_11silu_kernelIS2_EES3_S5_EENS1_15Float8_e4m3fnuzEEEvPT1_PS4_PKfi,comdat
.Lfunc_end5:
	.size	_ZN4vllm24act_and_mul_quant_kernelIN3c108BFloat16ETnPFT_RKS3_EXadL_ZNS_11silu_kernelIS2_EES3_S5_EENS1_15Float8_e4m3fnuzEEEvPT1_PS4_PKfi, .Lfunc_end5-_ZN4vllm24act_and_mul_quant_kernelIN3c108BFloat16ETnPFT_RKS3_EXadL_ZNS_11silu_kernelIS2_EES3_S5_EENS1_15Float8_e4m3fnuzEEEvPT1_PS4_PKfi
                                        ; -- End function
	.section	.AMDGPU.csdata,"",@progbits
; Kernel info:
; codeLenInByte = 11476
; NumSgprs: 78
; NumVgprs: 65
; NumAgprs: 0
; TotalNumVgprs: 65
; ScratchSize: 0
; MemoryBound: 0
; FloatMode: 240
; IeeeMode: 1
; LDSByteSize: 0 bytes/workgroup (compile time only)
; SGPRBlocks: 9
; VGPRBlocks: 8
; NumSGPRsForWavesPerEU: 78
; NumVGPRsForWavesPerEU: 65
; AccumOffset: 68
; Occupancy: 7
; WaveLimiterHint : 0
; COMPUTE_PGM_RSRC2:SCRATCH_EN: 0
; COMPUTE_PGM_RSRC2:USER_SGPR: 6
; COMPUTE_PGM_RSRC2:TRAP_HANDLER: 0
; COMPUTE_PGM_RSRC2:TGID_X_EN: 1
; COMPUTE_PGM_RSRC2:TGID_Y_EN: 1
; COMPUTE_PGM_RSRC2:TGID_Z_EN: 0
; COMPUTE_PGM_RSRC2:TIDIG_COMP_CNT: 0
; COMPUTE_PGM_RSRC3_GFX90A:ACCUM_OFFSET: 16
; COMPUTE_PGM_RSRC3_GFX90A:TG_SPLIT: 0
	.text
	.p2alignl 6, 3212836864
	.fill 256, 4, 3212836864
	.type	__hip_cuid_d4fb54442895502d,@object ; @__hip_cuid_d4fb54442895502d
	.section	.bss,"aw",@nobits
	.globl	__hip_cuid_d4fb54442895502d
__hip_cuid_d4fb54442895502d:
	.byte	0                               ; 0x0
	.size	__hip_cuid_d4fb54442895502d, 1

	.ident	"AMD clang version 19.0.0git (https://github.com/RadeonOpenCompute/llvm-project roc-6.4.0 25133 c7fe45cf4b819c5991fe208aaa96edf142730f1d)"
	.section	".note.GNU-stack","",@progbits
	.addrsig
	.addrsig_sym __hip_cuid_d4fb54442895502d
	.amdgpu_metadata
---
amdhsa.kernels:
  - .agpr_count:     0
    .args:
      - .actual_access:  write_only
        .address_space:  global
        .offset:         0
        .size:           8
        .value_kind:     global_buffer
      - .actual_access:  read_only
        .address_space:  global
        .offset:         8
        .size:           8
        .value_kind:     global_buffer
      - .address_space:  global
        .offset:         16
        .size:           8
        .value_kind:     global_buffer
      - .offset:         24
        .size:           4
        .value_kind:     by_value
      - .offset:         32
        .size:           4
        .value_kind:     hidden_block_count_x
      - .offset:         36
        .size:           4
        .value_kind:     hidden_block_count_y
      - .offset:         40
        .size:           4
        .value_kind:     hidden_block_count_z
      - .offset:         44
        .size:           2
        .value_kind:     hidden_group_size_x
      - .offset:         46
        .size:           2
        .value_kind:     hidden_group_size_y
      - .offset:         48
        .size:           2
        .value_kind:     hidden_group_size_z
      - .offset:         50
        .size:           2
        .value_kind:     hidden_remainder_x
      - .offset:         52
        .size:           2
        .value_kind:     hidden_remainder_y
      - .offset:         54
        .size:           2
        .value_kind:     hidden_remainder_z
      - .offset:         72
        .size:           8
        .value_kind:     hidden_global_offset_x
      - .offset:         80
        .size:           8
        .value_kind:     hidden_global_offset_y
      - .offset:         88
        .size:           8
        .value_kind:     hidden_global_offset_z
      - .offset:         96
        .size:           2
        .value_kind:     hidden_grid_dims
    .group_segment_fixed_size: 0
    .kernarg_segment_align: 8
    .kernarg_segment_size: 288
    .language:       OpenCL C
    .language_version:
      - 2
      - 0
    .max_flat_workgroup_size: 1024
    .name:           _ZN4vllm24act_and_mul_quant_kernelIfTnPFT_RKS1_EXadL_ZNS_11silu_kernelIfEES1_S3_EEN3c1013Float8_e4m3fnEEEvPT1_PS2_PKfi
    .private_segment_fixed_size: 0
    .sgpr_count:     67
    .sgpr_spill_count: 0
    .symbol:         _ZN4vllm24act_and_mul_quant_kernelIfTnPFT_RKS1_EXadL_ZNS_11silu_kernelIfEES1_S3_EEN3c1013Float8_e4m3fnEEEvPT1_PS2_PKfi.kd
    .uniform_work_group_size: 1
    .uses_dynamic_stack: false
    .vgpr_count:     58
    .vgpr_spill_count: 0
    .wavefront_size: 64
  - .agpr_count:     0
    .args:
      - .actual_access:  write_only
        .address_space:  global
        .offset:         0
        .size:           8
        .value_kind:     global_buffer
      - .actual_access:  read_only
        .address_space:  global
        .offset:         8
        .size:           8
        .value_kind:     global_buffer
      - .address_space:  global
        .offset:         16
        .size:           8
        .value_kind:     global_buffer
      - .offset:         24
        .size:           4
        .value_kind:     by_value
      - .offset:         32
        .size:           4
        .value_kind:     hidden_block_count_x
      - .offset:         36
        .size:           4
        .value_kind:     hidden_block_count_y
      - .offset:         40
        .size:           4
        .value_kind:     hidden_block_count_z
      - .offset:         44
        .size:           2
        .value_kind:     hidden_group_size_x
      - .offset:         46
        .size:           2
        .value_kind:     hidden_group_size_y
      - .offset:         48
        .size:           2
        .value_kind:     hidden_group_size_z
      - .offset:         50
        .size:           2
        .value_kind:     hidden_remainder_x
      - .offset:         52
        .size:           2
        .value_kind:     hidden_remainder_y
      - .offset:         54
        .size:           2
        .value_kind:     hidden_remainder_z
      - .offset:         72
        .size:           8
        .value_kind:     hidden_global_offset_x
      - .offset:         80
        .size:           8
        .value_kind:     hidden_global_offset_y
      - .offset:         88
        .size:           8
        .value_kind:     hidden_global_offset_z
      - .offset:         96
        .size:           2
        .value_kind:     hidden_grid_dims
    .group_segment_fixed_size: 0
    .kernarg_segment_align: 8
    .kernarg_segment_size: 288
    .language:       OpenCL C
    .language_version:
      - 2
      - 0
    .max_flat_workgroup_size: 1024
    .name:           _ZN4vllm24act_and_mul_quant_kernelIfTnPFT_RKS1_EXadL_ZNS_11silu_kernelIfEES1_S3_EEN3c1015Float8_e4m3fnuzEEEvPT1_PS2_PKfi
    .private_segment_fixed_size: 0
    .sgpr_count:     57
    .sgpr_spill_count: 0
    .symbol:         _ZN4vllm24act_and_mul_quant_kernelIfTnPFT_RKS1_EXadL_ZNS_11silu_kernelIfEES1_S3_EEN3c1015Float8_e4m3fnuzEEEvPT1_PS2_PKfi.kd
    .uniform_work_group_size: 1
    .uses_dynamic_stack: false
    .vgpr_count:     51
    .vgpr_spill_count: 0
    .wavefront_size: 64
  - .agpr_count:     0
    .args:
      - .actual_access:  write_only
        .address_space:  global
        .offset:         0
        .size:           8
        .value_kind:     global_buffer
      - .actual_access:  read_only
        .address_space:  global
        .offset:         8
        .size:           8
        .value_kind:     global_buffer
      - .address_space:  global
        .offset:         16
        .size:           8
        .value_kind:     global_buffer
      - .offset:         24
        .size:           4
        .value_kind:     by_value
      - .offset:         32
        .size:           4
        .value_kind:     hidden_block_count_x
      - .offset:         36
        .size:           4
        .value_kind:     hidden_block_count_y
      - .offset:         40
        .size:           4
        .value_kind:     hidden_block_count_z
      - .offset:         44
        .size:           2
        .value_kind:     hidden_group_size_x
      - .offset:         46
        .size:           2
        .value_kind:     hidden_group_size_y
      - .offset:         48
        .size:           2
        .value_kind:     hidden_group_size_z
      - .offset:         50
        .size:           2
        .value_kind:     hidden_remainder_x
      - .offset:         52
        .size:           2
        .value_kind:     hidden_remainder_y
      - .offset:         54
        .size:           2
        .value_kind:     hidden_remainder_z
      - .offset:         72
        .size:           8
        .value_kind:     hidden_global_offset_x
      - .offset:         80
        .size:           8
        .value_kind:     hidden_global_offset_y
      - .offset:         88
        .size:           8
        .value_kind:     hidden_global_offset_z
      - .offset:         96
        .size:           2
        .value_kind:     hidden_grid_dims
    .group_segment_fixed_size: 0
    .kernarg_segment_align: 8
    .kernarg_segment_size: 288
    .language:       OpenCL C
    .language_version:
      - 2
      - 0
    .max_flat_workgroup_size: 1024
    .name:           _ZN4vllm24act_and_mul_quant_kernelIN3c104HalfETnPFT_RKS3_EXadL_ZNS_11silu_kernelIS2_EES3_S5_EENS1_13Float8_e4m3fnEEEvPT1_PS4_PKfi
    .private_segment_fixed_size: 0
    .sgpr_count:     88
    .sgpr_spill_count: 0
    .symbol:         _ZN4vllm24act_and_mul_quant_kernelIN3c104HalfETnPFT_RKS3_EXadL_ZNS_11silu_kernelIS2_EES3_S5_EENS1_13Float8_e4m3fnEEEvPT1_PS4_PKfi.kd
    .uniform_work_group_size: 1
    .uses_dynamic_stack: false
    .vgpr_count:     64
    .vgpr_spill_count: 0
    .wavefront_size: 64
  - .agpr_count:     0
    .args:
      - .actual_access:  write_only
        .address_space:  global
        .offset:         0
        .size:           8
        .value_kind:     global_buffer
      - .actual_access:  read_only
        .address_space:  global
        .offset:         8
        .size:           8
        .value_kind:     global_buffer
      - .address_space:  global
        .offset:         16
        .size:           8
        .value_kind:     global_buffer
      - .offset:         24
        .size:           4
        .value_kind:     by_value
      - .offset:         32
        .size:           4
        .value_kind:     hidden_block_count_x
      - .offset:         36
        .size:           4
        .value_kind:     hidden_block_count_y
      - .offset:         40
        .size:           4
        .value_kind:     hidden_block_count_z
      - .offset:         44
        .size:           2
        .value_kind:     hidden_group_size_x
      - .offset:         46
        .size:           2
        .value_kind:     hidden_group_size_y
      - .offset:         48
        .size:           2
        .value_kind:     hidden_group_size_z
      - .offset:         50
        .size:           2
        .value_kind:     hidden_remainder_x
      - .offset:         52
        .size:           2
        .value_kind:     hidden_remainder_y
      - .offset:         54
        .size:           2
        .value_kind:     hidden_remainder_z
      - .offset:         72
        .size:           8
        .value_kind:     hidden_global_offset_x
      - .offset:         80
        .size:           8
        .value_kind:     hidden_global_offset_y
      - .offset:         88
        .size:           8
        .value_kind:     hidden_global_offset_z
      - .offset:         96
        .size:           2
        .value_kind:     hidden_grid_dims
    .group_segment_fixed_size: 0
    .kernarg_segment_align: 8
    .kernarg_segment_size: 288
    .language:       OpenCL C
    .language_version:
      - 2
      - 0
    .max_flat_workgroup_size: 1024
    .name:           _ZN4vllm24act_and_mul_quant_kernelIN3c104HalfETnPFT_RKS3_EXadL_ZNS_11silu_kernelIS2_EES3_S5_EENS1_15Float8_e4m3fnuzEEEvPT1_PS4_PKfi
    .private_segment_fixed_size: 0
    .sgpr_count:     78
    .sgpr_spill_count: 0
    .symbol:         _ZN4vllm24act_and_mul_quant_kernelIN3c104HalfETnPFT_RKS3_EXadL_ZNS_11silu_kernelIS2_EES3_S5_EENS1_15Float8_e4m3fnuzEEEvPT1_PS4_PKfi.kd
    .uniform_work_group_size: 1
    .uses_dynamic_stack: false
    .vgpr_count:     64
    .vgpr_spill_count: 0
    .wavefront_size: 64
  - .agpr_count:     0
    .args:
      - .actual_access:  write_only
        .address_space:  global
        .offset:         0
        .size:           8
        .value_kind:     global_buffer
      - .actual_access:  read_only
        .address_space:  global
        .offset:         8
        .size:           8
        .value_kind:     global_buffer
      - .address_space:  global
        .offset:         16
        .size:           8
        .value_kind:     global_buffer
      - .offset:         24
        .size:           4
        .value_kind:     by_value
      - .offset:         32
        .size:           4
        .value_kind:     hidden_block_count_x
      - .offset:         36
        .size:           4
        .value_kind:     hidden_block_count_y
      - .offset:         40
        .size:           4
        .value_kind:     hidden_block_count_z
      - .offset:         44
        .size:           2
        .value_kind:     hidden_group_size_x
      - .offset:         46
        .size:           2
        .value_kind:     hidden_group_size_y
      - .offset:         48
        .size:           2
        .value_kind:     hidden_group_size_z
      - .offset:         50
        .size:           2
        .value_kind:     hidden_remainder_x
      - .offset:         52
        .size:           2
        .value_kind:     hidden_remainder_y
      - .offset:         54
        .size:           2
        .value_kind:     hidden_remainder_z
      - .offset:         72
        .size:           8
        .value_kind:     hidden_global_offset_x
      - .offset:         80
        .size:           8
        .value_kind:     hidden_global_offset_y
      - .offset:         88
        .size:           8
        .value_kind:     hidden_global_offset_z
      - .offset:         96
        .size:           2
        .value_kind:     hidden_grid_dims
    .group_segment_fixed_size: 0
    .kernarg_segment_align: 8
    .kernarg_segment_size: 288
    .language:       OpenCL C
    .language_version:
      - 2
      - 0
    .max_flat_workgroup_size: 1024
    .name:           _ZN4vllm24act_and_mul_quant_kernelIN3c108BFloat16ETnPFT_RKS3_EXadL_ZNS_11silu_kernelIS2_EES3_S5_EENS1_13Float8_e4m3fnEEEvPT1_PS4_PKfi
    .private_segment_fixed_size: 0
    .sgpr_count:     90
    .sgpr_spill_count: 0
    .symbol:         _ZN4vllm24act_and_mul_quant_kernelIN3c108BFloat16ETnPFT_RKS3_EXadL_ZNS_11silu_kernelIS2_EES3_S5_EENS1_13Float8_e4m3fnEEEvPT1_PS4_PKfi.kd
    .uniform_work_group_size: 1
    .uses_dynamic_stack: false
    .vgpr_count:     66
    .vgpr_spill_count: 0
    .wavefront_size: 64
  - .agpr_count:     0
    .args:
      - .actual_access:  write_only
        .address_space:  global
        .offset:         0
        .size:           8
        .value_kind:     global_buffer
      - .actual_access:  read_only
        .address_space:  global
        .offset:         8
        .size:           8
        .value_kind:     global_buffer
      - .address_space:  global
        .offset:         16
        .size:           8
        .value_kind:     global_buffer
      - .offset:         24
        .size:           4
        .value_kind:     by_value
      - .offset:         32
        .size:           4
        .value_kind:     hidden_block_count_x
      - .offset:         36
        .size:           4
        .value_kind:     hidden_block_count_y
      - .offset:         40
        .size:           4
        .value_kind:     hidden_block_count_z
      - .offset:         44
        .size:           2
        .value_kind:     hidden_group_size_x
      - .offset:         46
        .size:           2
        .value_kind:     hidden_group_size_y
      - .offset:         48
        .size:           2
        .value_kind:     hidden_group_size_z
      - .offset:         50
        .size:           2
        .value_kind:     hidden_remainder_x
      - .offset:         52
        .size:           2
        .value_kind:     hidden_remainder_y
      - .offset:         54
        .size:           2
        .value_kind:     hidden_remainder_z
      - .offset:         72
        .size:           8
        .value_kind:     hidden_global_offset_x
      - .offset:         80
        .size:           8
        .value_kind:     hidden_global_offset_y
      - .offset:         88
        .size:           8
        .value_kind:     hidden_global_offset_z
      - .offset:         96
        .size:           2
        .value_kind:     hidden_grid_dims
    .group_segment_fixed_size: 0
    .kernarg_segment_align: 8
    .kernarg_segment_size: 288
    .language:       OpenCL C
    .language_version:
      - 2
      - 0
    .max_flat_workgroup_size: 1024
    .name:           _ZN4vllm24act_and_mul_quant_kernelIN3c108BFloat16ETnPFT_RKS3_EXadL_ZNS_11silu_kernelIS2_EES3_S5_EENS1_15Float8_e4m3fnuzEEEvPT1_PS4_PKfi
    .private_segment_fixed_size: 0
    .sgpr_count:     78
    .sgpr_spill_count: 0
    .symbol:         _ZN4vllm24act_and_mul_quant_kernelIN3c108BFloat16ETnPFT_RKS3_EXadL_ZNS_11silu_kernelIS2_EES3_S5_EENS1_15Float8_e4m3fnuzEEEvPT1_PS4_PKfi.kd
    .uniform_work_group_size: 1
    .uses_dynamic_stack: false
    .vgpr_count:     65
    .vgpr_spill_count: 0
    .wavefront_size: 64
amdhsa.target:   amdgcn-amd-amdhsa--gfx90a
amdhsa.version:
  - 1
  - 2
...

	.end_amdgpu_metadata
